;; amdgpu-corpus repo=ROCm/rocSOLVER kind=compiled arch=gfx906 opt=O3
	.amdgcn_target "amdgcn-amd-amdhsa--gfx906"
	.amdhsa_code_object_version 6
	.section	.text._ZN9rocsolver6v33100L18larfg_kernel_smallILi64E19rocblas_complex_numIdEidPS3_EEvT1_T3_llPT2_llS6_lS5_lPT0_l,"axG",@progbits,_ZN9rocsolver6v33100L18larfg_kernel_smallILi64E19rocblas_complex_numIdEidPS3_EEvT1_T3_llPT2_llS6_lS5_lPT0_l,comdat
	.globl	_ZN9rocsolver6v33100L18larfg_kernel_smallILi64E19rocblas_complex_numIdEidPS3_EEvT1_T3_llPT2_llS6_lS5_lPT0_l ; -- Begin function _ZN9rocsolver6v33100L18larfg_kernel_smallILi64E19rocblas_complex_numIdEidPS3_EEvT1_T3_llPT2_llS6_lS5_lPT0_l
	.p2align	8
	.type	_ZN9rocsolver6v33100L18larfg_kernel_smallILi64E19rocblas_complex_numIdEidPS3_EEvT1_T3_llPT2_llS6_lS5_lPT0_l,@function
_ZN9rocsolver6v33100L18larfg_kernel_smallILi64E19rocblas_complex_numIdEidPS3_EEvT1_T3_llPT2_llS6_lS5_lPT0_l: ; @_ZN9rocsolver6v33100L18larfg_kernel_smallILi64E19rocblas_complex_numIdEidPS3_EEvT1_T3_llPT2_llS6_lS5_lPT0_l
; %bb.0:
	s_load_dwordx16 s[8:23], s[4:5], 0x8
	s_ashr_i32 s6, s7, 31
	s_mov_b64 s[24:25], 0
	s_waitcnt lgkmcnt(0)
	s_cmp_eq_u64 s[14:15], 0
	s_cbranch_scc1 .LBB0_2
; %bb.1:
	s_mul_i32 s0, s18, s6
	s_mul_hi_u32 s1, s18, s7
	s_add_i32 s0, s1, s0
	s_mul_i32 s1, s19, s7
	s_add_i32 s1, s0, s1
	s_mul_i32 s0, s18, s7
	s_lshl_b64 s[0:1], s[0:1], 3
	s_add_u32 s2, s14, s0
	s_addc_u32 s3, s15, s1
	s_lshl_b64 s[0:1], s[16:17], 3
	s_add_u32 s24, s2, s0
	s_addc_u32 s25, s3, s1
.LBB0_2:
	s_load_dwordx4 s[0:3], s[4:5], 0x50
	s_load_dword s16, s[4:5], 0x0
	s_load_dword s26, s[4:5], 0x48
	s_load_dwordx2 s[14:15], s[4:5], 0x60
	v_mov_b32_e32 v1, 0
	s_waitcnt lgkmcnt(0)
	s_mul_i32 s4, s0, s6
	s_mul_hi_u32 s5, s0, s7
	s_add_i32 s4, s5, s4
	s_mul_i32 s1, s1, s7
	s_add_i32 s1, s4, s1
	s_mul_i32 s0, s0, s7
	s_lshl_b64 s[0:1], s[0:1], 4
	s_add_u32 s4, s20, s0
	s_addc_u32 s5, s21, s1
	s_lshl_b64 s[0:1], s[22:23], 4
	v_mul_lo_u32 v5, v0, s26
	s_add_u32 s20, s4, s0
	s_addc_u32 s22, s5, s1
	s_add_i32 s21, s16, -1
	v_mov_b32_e32 v3, 0
	v_mov_b32_e32 v2, 0
	;; [unrolled: 1-line block ×3, first 2 shown]
	v_cmp_gt_i32_e64 s[0:1], s21, v0
	s_and_saveexec_b64 s[4:5], s[0:1]
	s_cbranch_execz .LBB0_6
; %bb.3:
	v_mul_lo_u32 v6, v0, s26
	v_mov_b32_e32 v1, 0
	v_mov_b32_e32 v3, 0
	s_lshl_b32 s18, s26, 6
	v_mov_b32_e32 v2, 0
	s_mov_b64 s[16:17], 0
	v_mov_b32_e32 v8, s22
	v_mov_b32_e32 v4, 0
	;; [unrolled: 1-line block ×3, first 2 shown]
.LBB0_4:                                ; =>This Inner Loop Header: Depth=1
	v_ashrrev_i32_e32 v7, 31, v6
	v_lshlrev_b64 v[10:11], 4, v[6:7]
	v_add_u32_e32 v9, 64, v9
	v_add_co_u32_e32 v10, vcc, s20, v10
	v_addc_co_u32_e32 v11, vcc, v8, v11, vcc
	global_load_dwordx4 v[10:13], v[10:11], off
	v_cmp_le_i32_e32 vcc, s21, v9
	s_or_b64 s[16:17], vcc, s[16:17]
	v_add_u32_e32 v6, s18, v6
	s_waitcnt vmcnt(0)
	v_mul_f64 v[14:15], v[12:13], v[12:13]
	v_mul_f64 v[16:17], v[10:11], v[12:13]
	v_fma_f64 v[14:15], v[10:11], v[10:11], v[14:15]
	v_fma_f64 v[10:11], v[10:11], v[12:13], -v[16:17]
	v_add_f64 v[3:4], v[3:4], v[14:15]
	v_add_f64 v[1:2], v[1:2], v[10:11]
	s_andn2_b64 exec, exec, s[16:17]
	s_cbranch_execnz .LBB0_4
; %bb.5:
	s_or_b64 exec, exec, s[16:17]
.LBB0_6:
	s_or_b64 exec, exec, s[4:5]
	v_mbcnt_lo_u32_b32 v6, -1, 0
	v_mbcnt_hi_u32_b32 v10, -1, v6
	v_and_b32_e32 v11, 63, v10
	v_cmp_ne_u32_e32 vcc, 63, v11
	v_addc_co_u32_e32 v6, vcc, 0, v10, vcc
	v_lshlrev_b32_e32 v9, 2, v6
	ds_bpermute_b32 v6, v9, v3
	ds_bpermute_b32 v7, v9, v4
	;; [unrolled: 1-line block ×4, first 2 shown]
	v_cmp_gt_u32_e32 vcc, 62, v11
	s_waitcnt lgkmcnt(2)
	v_add_f64 v[3:4], v[3:4], v[6:7]
	v_cndmask_b32_e64 v6, 0, 2, vcc
	s_waitcnt lgkmcnt(0)
	v_add_f64 v[1:2], v[1:2], v[8:9]
	v_add_lshl_u32 v9, v6, v10, 2
	v_cmp_gt_u32_e32 vcc, 60, v11
	ds_bpermute_b32 v6, v9, v3
	ds_bpermute_b32 v7, v9, v4
	ds_bpermute_b32 v8, v9, v1
	ds_bpermute_b32 v9, v9, v2
	s_waitcnt lgkmcnt(2)
	v_add_f64 v[3:4], v[3:4], v[6:7]
	v_cndmask_b32_e64 v6, 0, 4, vcc
	s_waitcnt lgkmcnt(0)
	v_add_f64 v[1:2], v[1:2], v[8:9]
	v_add_lshl_u32 v9, v6, v10, 2
	v_cmp_gt_u32_e32 vcc, 56, v11
	ds_bpermute_b32 v6, v9, v3
	ds_bpermute_b32 v7, v9, v4
	ds_bpermute_b32 v8, v9, v1
	ds_bpermute_b32 v9, v9, v2
	;; [unrolled: 11-line block ×3, first 2 shown]
	s_waitcnt lgkmcnt(2)
	v_add_f64 v[3:4], v[3:4], v[6:7]
	v_cndmask_b32_e64 v6, 0, 16, vcc
	s_waitcnt lgkmcnt(0)
	v_add_f64 v[1:2], v[1:2], v[8:9]
	v_add_lshl_u32 v9, v6, v10, 2
	v_cmp_eq_u32_e32 vcc, 0, v0
	ds_bpermute_b32 v6, v9, v3
	ds_bpermute_b32 v7, v9, v4
	;; [unrolled: 1-line block ×4, first 2 shown]
	s_waitcnt lgkmcnt(2)
	v_add_f64 v[3:4], v[3:4], v[6:7]
	s_waitcnt lgkmcnt(0)
	v_add_f64 v[6:7], v[1:2], v[8:9]
	v_mov_b32_e32 v1, 0x80
	v_lshl_or_b32 v9, v10, 2, v1
	ds_bpermute_b32 v1, v9, v3
	ds_bpermute_b32 v2, v9, v4
	;; [unrolled: 1-line block ×4, first 2 shown]
	s_waitcnt lgkmcnt(2)
	v_add_f64 v[1:2], v[3:4], v[1:2]
	s_waitcnt lgkmcnt(0)
	v_add_f64 v[3:4], v[6:7], v[8:9]
	s_and_saveexec_b64 s[4:5], vcc
; %bb.7:
	v_lshrrev_b32_e32 v6, 2, v0
	ds_write_b128 v6, v[1:4]
; %bb.8:
	s_or_b64 exec, exec, s[4:5]
	v_cmp_eq_u32_e32 vcc, 0, v0
	s_waitcnt lgkmcnt(0)
	; wave barrier
	s_and_saveexec_b64 s[4:5], vcc
; %bb.9:
	v_mov_b32_e32 v6, 0
	ds_write_b128 v6, v[1:4]
; %bb.10:
	s_or_b64 exec, exec, s[4:5]
	s_waitcnt lgkmcnt(0)
	; wave barrier
	s_and_saveexec_b64 s[4:5], vcc
	s_cbranch_execz .LBB0_20
; %bb.11:
	s_mul_i32 s16, s12, s6
	s_mul_hi_u32 s17, s12, s7
	s_add_i32 s16, s17, s16
	s_mul_i32 s13, s13, s7
	s_add_i32 s13, s16, s13
	s_mul_i32 s12, s12, s7
	s_lshl_b64 s[12:13], s[12:13], 4
	s_add_u32 s12, s8, s12
	s_addc_u32 s13, s9, s13
	s_lshl_b64 s[8:9], s[10:11], 4
	s_add_u32 s8, s12, s8
	s_addc_u32 s9, s13, s9
	v_mov_b32_e32 v1, 0
	s_load_dwordx2 s[10:11], s[8:9], 0x8
	ds_read_b64 v[8:9], v1
	s_mul_i32 s6, s14, s6
	s_mul_hi_u32 s12, s14, s7
	s_add_i32 s6, s12, s6
	s_waitcnt lgkmcnt(0)
	v_mul_f64 v[6:7], s[10:11], s[10:11]
	v_max_f64 v[2:3], v[8:9], v[8:9]
	s_mul_i32 s12, s15, s7
	s_add_i32 s13, s6, s12
	s_mul_i32 s12, s14, s7
	s_lshl_b64 s[6:7], s[12:13], 4
	s_add_u32 s6, s2, s6
	s_addc_u32 s7, s3, s7
	s_cmp_eq_u64 s[24:25], 0
	v_max_f64 v[2:3], v[2:3], v[6:7]
	s_cselect_b64 s[14:15], -1, 0
	s_cmp_lg_u64 s[24:25], 0
	s_mov_b64 s[2:3], 0
	s_cselect_b64 s[12:13], -1, 0
	v_cmp_nlt_f64_e32 vcc, 0, v[2:3]
	s_cbranch_vccz .LBB0_14
; %bb.12:
	v_mov_b32_e32 v2, 0x3ff00000
	v_mov_b32_e32 v3, v1
	;; [unrolled: 1-line block ×3, first 2 shown]
	ds_write_b128 v1, v[1:4]
	v_mov_b32_e32 v2, v1
	s_mov_b64 s[18:19], 0
	s_and_b64 vcc, exec, s[12:13]
	global_store_dwordx4 v1, v[1:4], s[6:7]
                                        ; implicit-def: $vgpr3_vgpr4
	s_cbranch_vccz .LBB0_15
; %bb.13:
	v_mov_b32_e32 v1, 0
	global_load_dwordx2 v[1:2], v1, s[8:9]
	s_mov_b64 s[16:17], -1
	s_and_b64 vcc, exec, s[18:19]
	s_cbranch_vccnz .LBB0_16
	s_branch .LBB0_17
.LBB0_14:
	s_mov_b64 s[18:19], -1
.LBB0_15:
	s_mov_b64 s[16:17], 0
                                        ; implicit-def: $vgpr1_vgpr2
	s_and_b64 vcc, exec, s[18:19]
	s_cbranch_vccz .LBB0_17
.LBB0_16:
	v_mov_b32_e32 v24, 0
	global_load_dwordx2 v[3:4], v24, s[8:9]
	s_mov_b32 s2, 0
	s_brev_b32 s3, 8
	s_waitcnt vmcnt(0)
	v_fma_f64 v[1:2], v[3:4], v[3:4], v[6:7]
	v_add_f64 v[1:2], v[8:9], v[1:2]
	v_cmp_gt_f64_e32 vcc, s[2:3], v[1:2]
	s_and_b64 s[2:3], vcc, exec
	s_cselect_b32 s2, 0x100, 0
	v_ldexp_f64 v[1:2], v[1:2], s2
	s_cselect_b32 s2, 0xffffff80, 0
	v_rsq_f64_e32 v[8:9], v[1:2]
	v_mul_f64 v[10:11], v[1:2], v[8:9]
	v_mul_f64 v[8:9], v[8:9], 0.5
	v_fma_f64 v[12:13], -v[8:9], v[10:11], 0.5
	v_fma_f64 v[10:11], v[10:11], v[12:13], v[10:11]
	v_fma_f64 v[8:9], v[8:9], v[12:13], v[8:9]
	v_fma_f64 v[12:13], -v[10:11], v[10:11], v[1:2]
	v_fma_f64 v[10:11], v[12:13], v[8:9], v[10:11]
	v_fma_f64 v[12:13], -v[10:11], v[10:11], v[1:2]
	v_fma_f64 v[8:9], v[12:13], v[8:9], v[10:11]
	v_mov_b32_e32 v10, 0x260
	v_cmp_class_f64_e32 vcc, v[1:2], v10
	v_ldexp_f64 v[8:9], v[8:9], s2
	v_cndmask_b32_e32 v1, v8, v1, vcc
	v_cndmask_b32_e32 v2, v9, v2, vcc
	v_cmp_le_f64_e32 vcc, 0, v[3:4]
	v_xor_b32_e32 v8, 0x80000000, v2
	v_cndmask_b32_e32 v2, v2, v8, vcc
	v_add_f64 v[8:9], v[3:4], -v[1:2]
	v_add_f64 v[3:4], v[1:2], -v[3:4]
	v_fma_f64 v[10:11], v[8:9], v[8:9], v[6:7]
	v_div_scale_f64 v[6:7], s[2:3], v[10:11], v[10:11], v[8:9]
	v_div_scale_f64 v[12:13], s[2:3], v[10:11], v[10:11], -s[10:11]
	v_rcp_f64_e32 v[14:15], v[6:7]
	v_rcp_f64_e32 v[16:17], v[12:13]
	v_fma_f64 v[18:19], -v[6:7], v[14:15], 1.0
	v_fma_f64 v[20:21], -v[12:13], v[16:17], 1.0
	v_fma_f64 v[14:15], v[14:15], v[18:19], v[14:15]
	v_fma_f64 v[16:17], v[16:17], v[20:21], v[16:17]
	v_div_scale_f64 v[20:21], vcc, v[8:9], v[10:11], v[8:9]
	v_fma_f64 v[18:19], -v[6:7], v[14:15], 1.0
	v_fma_f64 v[14:15], v[14:15], v[18:19], v[14:15]
	v_fma_f64 v[18:19], -v[12:13], v[16:17], 1.0
	v_fma_f64 v[16:17], v[16:17], v[18:19], v[16:17]
	v_mul_f64 v[18:19], v[20:21], v[14:15]
	v_fma_f64 v[6:7], -v[6:7], v[18:19], v[20:21]
	v_div_scale_f64 v[20:21], s[2:3], -s[10:11], v[10:11], -s[10:11]
	v_div_fmas_f64 v[6:7], v[6:7], v[14:15], v[18:19]
	v_div_scale_f64 v[14:15], s[16:17], v[1:2], v[1:2], v[3:4]
	s_mov_b64 vcc, s[2:3]
	s_mov_b64 s[16:17], s[12:13]
	v_mul_f64 v[18:19], v[20:21], v[16:17]
	v_div_fixup_f64 v[6:7], v[6:7], v[10:11], v[8:9]
	v_fma_f64 v[12:13], -v[12:13], v[18:19], v[20:21]
	v_rcp_f64_e32 v[20:21], v[14:15]
	v_div_fmas_f64 v[12:13], v[12:13], v[16:17], v[18:19]
	v_div_scale_f64 v[16:17], vcc, v[3:4], v[1:2], v[3:4]
	v_fma_f64 v[22:23], -v[14:15], v[20:21], 1.0
	v_div_fixup_f64 v[8:9], v[12:13], v[10:11], -s[10:11]
	v_fma_f64 v[20:21], v[20:21], v[22:23], v[20:21]
	ds_write_b128 v24, v[6:9]
	v_fma_f64 v[18:19], -v[14:15], v[20:21], 1.0
	v_fma_f64 v[18:19], v[20:21], v[18:19], v[20:21]
	v_mul_f64 v[20:21], v[16:17], v[18:19]
	v_fma_f64 v[14:15], -v[14:15], v[20:21], v[16:17]
	v_div_scale_f64 v[16:17], s[2:3], v[1:2], v[1:2], -s[10:11]
	s_mov_b64 s[2:3], s[14:15]
	v_div_fmas_f64 v[14:15], v[14:15], v[18:19], v[20:21]
	v_rcp_f64_e32 v[18:19], v[16:17]
	v_div_fixup_f64 v[10:11], v[14:15], v[1:2], v[3:4]
	v_fma_f64 v[20:21], -v[16:17], v[18:19], 1.0
	v_fma_f64 v[18:19], v[18:19], v[20:21], v[18:19]
	v_fma_f64 v[20:21], -v[16:17], v[18:19], 1.0
	v_fma_f64 v[18:19], v[18:19], v[20:21], v[18:19]
	v_div_scale_f64 v[20:21], vcc, -s[10:11], v[1:2], -s[10:11]
	v_mul_f64 v[22:23], v[20:21], v[18:19]
	v_fma_f64 v[16:17], -v[16:17], v[22:23], v[20:21]
	s_nop 1
	v_div_fmas_f64 v[16:17], v[16:17], v[18:19], v[22:23]
	v_div_fixup_f64 v[12:13], v[16:17], v[1:2], -s[10:11]
	global_store_dwordx4 v24, v[10:13], s[6:7]
.LBB0_17:
	s_andn2_b64 vcc, exec, s[16:17]
	s_cbranch_vccz .LBB0_24
; %bb.18:
	s_andn2_b64 vcc, exec, s[2:3]
	s_cbranch_vccnz .LBB0_20
.LBB0_19:
	v_mov_b32_e32 v3, 0
	v_mov_b32_e32 v4, v3
	s_waitcnt vmcnt(0)
	global_store_dwordx4 v3, v[1:4], s[8:9]
.LBB0_20:
	s_or_b64 exec, exec, s[4:5]
	s_waitcnt lgkmcnt(0)
	; wave barrier
	s_and_saveexec_b64 s[2:3], s[0:1]
	s_cbranch_execz .LBB0_23
; %bb.21:
	s_waitcnt vmcnt(0)
	v_mov_b32_e32 v1, 0
	ds_read_b128 v[1:4], v1
	s_lshl_b32 s2, s26, 6
	s_mov_b64 s[0:1], 0
	v_mov_b32_e32 v7, s22
.LBB0_22:                               ; =>This Inner Loop Header: Depth=1
	v_ashrrev_i32_e32 v6, 31, v5
	v_lshlrev_b64 v[8:9], 4, v[5:6]
	v_add_u32_e32 v0, 64, v0
	v_add_co_u32_e32 v14, vcc, s20, v8
	v_addc_co_u32_e32 v15, vcc, v7, v9, vcc
	global_load_dwordx4 v[8:11], v[14:15], off
	v_cmp_le_i32_e32 vcc, s21, v0
	s_or_b64 s[0:1], vcc, s[0:1]
	v_add_u32_e32 v5, s2, v5
	s_waitcnt vmcnt(0) lgkmcnt(0)
	v_mul_f64 v[12:13], v[3:4], v[10:11]
	v_mul_f64 v[16:17], v[1:2], v[10:11]
	v_fma_f64 v[10:11], v[1:2], v[8:9], -v[12:13]
	v_fma_f64 v[12:13], v[3:4], v[8:9], v[16:17]
	global_store_dwordx4 v[14:15], v[10:13], off
	s_andn2_b64 exec, exec, s[0:1]
	s_cbranch_execnz .LBB0_22
.LBB0_23:
	s_endpgm
.LBB0_24:
	v_mov_b32_e32 v3, 0
	s_waitcnt vmcnt(0)
	global_store_dwordx2 v3, v[1:2], s[24:25]
	v_mov_b32_e32 v1, 0
	v_mov_b32_e32 v2, 0x3ff00000
	s_branch .LBB0_19
	.section	.rodata,"a",@progbits
	.p2align	6, 0x0
	.amdhsa_kernel _ZN9rocsolver6v33100L18larfg_kernel_smallILi64E19rocblas_complex_numIdEidPS3_EEvT1_T3_llPT2_llS6_lS5_lPT0_l
		.amdhsa_group_segment_fixed_size 16
		.amdhsa_private_segment_fixed_size 0
		.amdhsa_kernarg_size 104
		.amdhsa_user_sgpr_count 6
		.amdhsa_user_sgpr_private_segment_buffer 1
		.amdhsa_user_sgpr_dispatch_ptr 0
		.amdhsa_user_sgpr_queue_ptr 0
		.amdhsa_user_sgpr_kernarg_segment_ptr 1
		.amdhsa_user_sgpr_dispatch_id 0
		.amdhsa_user_sgpr_flat_scratch_init 0
		.amdhsa_user_sgpr_private_segment_size 0
		.amdhsa_uses_dynamic_stack 0
		.amdhsa_system_sgpr_private_segment_wavefront_offset 0
		.amdhsa_system_sgpr_workgroup_id_x 1
		.amdhsa_system_sgpr_workgroup_id_y 0
		.amdhsa_system_sgpr_workgroup_id_z 1
		.amdhsa_system_sgpr_workgroup_info 0
		.amdhsa_system_vgpr_workitem_id 0
		.amdhsa_next_free_vgpr 25
		.amdhsa_next_free_sgpr 27
		.amdhsa_reserve_vcc 1
		.amdhsa_reserve_flat_scratch 0
		.amdhsa_float_round_mode_32 0
		.amdhsa_float_round_mode_16_64 0
		.amdhsa_float_denorm_mode_32 3
		.amdhsa_float_denorm_mode_16_64 3
		.amdhsa_dx10_clamp 1
		.amdhsa_ieee_mode 1
		.amdhsa_fp16_overflow 0
		.amdhsa_exception_fp_ieee_invalid_op 0
		.amdhsa_exception_fp_denorm_src 0
		.amdhsa_exception_fp_ieee_div_zero 0
		.amdhsa_exception_fp_ieee_overflow 0
		.amdhsa_exception_fp_ieee_underflow 0
		.amdhsa_exception_fp_ieee_inexact 0
		.amdhsa_exception_int_div_zero 0
	.end_amdhsa_kernel
	.section	.text._ZN9rocsolver6v33100L18larfg_kernel_smallILi64E19rocblas_complex_numIdEidPS3_EEvT1_T3_llPT2_llS6_lS5_lPT0_l,"axG",@progbits,_ZN9rocsolver6v33100L18larfg_kernel_smallILi64E19rocblas_complex_numIdEidPS3_EEvT1_T3_llPT2_llS6_lS5_lPT0_l,comdat
.Lfunc_end0:
	.size	_ZN9rocsolver6v33100L18larfg_kernel_smallILi64E19rocblas_complex_numIdEidPS3_EEvT1_T3_llPT2_llS6_lS5_lPT0_l, .Lfunc_end0-_ZN9rocsolver6v33100L18larfg_kernel_smallILi64E19rocblas_complex_numIdEidPS3_EEvT1_T3_llPT2_llS6_lS5_lPT0_l
                                        ; -- End function
	.set _ZN9rocsolver6v33100L18larfg_kernel_smallILi64E19rocblas_complex_numIdEidPS3_EEvT1_T3_llPT2_llS6_lS5_lPT0_l.num_vgpr, 25
	.set _ZN9rocsolver6v33100L18larfg_kernel_smallILi64E19rocblas_complex_numIdEidPS3_EEvT1_T3_llPT2_llS6_lS5_lPT0_l.num_agpr, 0
	.set _ZN9rocsolver6v33100L18larfg_kernel_smallILi64E19rocblas_complex_numIdEidPS3_EEvT1_T3_llPT2_llS6_lS5_lPT0_l.numbered_sgpr, 27
	.set _ZN9rocsolver6v33100L18larfg_kernel_smallILi64E19rocblas_complex_numIdEidPS3_EEvT1_T3_llPT2_llS6_lS5_lPT0_l.num_named_barrier, 0
	.set _ZN9rocsolver6v33100L18larfg_kernel_smallILi64E19rocblas_complex_numIdEidPS3_EEvT1_T3_llPT2_llS6_lS5_lPT0_l.private_seg_size, 0
	.set _ZN9rocsolver6v33100L18larfg_kernel_smallILi64E19rocblas_complex_numIdEidPS3_EEvT1_T3_llPT2_llS6_lS5_lPT0_l.uses_vcc, 1
	.set _ZN9rocsolver6v33100L18larfg_kernel_smallILi64E19rocblas_complex_numIdEidPS3_EEvT1_T3_llPT2_llS6_lS5_lPT0_l.uses_flat_scratch, 0
	.set _ZN9rocsolver6v33100L18larfg_kernel_smallILi64E19rocblas_complex_numIdEidPS3_EEvT1_T3_llPT2_llS6_lS5_lPT0_l.has_dyn_sized_stack, 0
	.set _ZN9rocsolver6v33100L18larfg_kernel_smallILi64E19rocblas_complex_numIdEidPS3_EEvT1_T3_llPT2_llS6_lS5_lPT0_l.has_recursion, 0
	.set _ZN9rocsolver6v33100L18larfg_kernel_smallILi64E19rocblas_complex_numIdEidPS3_EEvT1_T3_llPT2_llS6_lS5_lPT0_l.has_indirect_call, 0
	.section	.AMDGPU.csdata,"",@progbits
; Kernel info:
; codeLenInByte = 1932
; TotalNumSgprs: 31
; NumVgprs: 25
; ScratchSize: 0
; MemoryBound: 0
; FloatMode: 240
; IeeeMode: 1
; LDSByteSize: 16 bytes/workgroup (compile time only)
; SGPRBlocks: 3
; VGPRBlocks: 6
; NumSGPRsForWavesPerEU: 31
; NumVGPRsForWavesPerEU: 25
; Occupancy: 9
; WaveLimiterHint : 1
; COMPUTE_PGM_RSRC2:SCRATCH_EN: 0
; COMPUTE_PGM_RSRC2:USER_SGPR: 6
; COMPUTE_PGM_RSRC2:TRAP_HANDLER: 0
; COMPUTE_PGM_RSRC2:TGID_X_EN: 1
; COMPUTE_PGM_RSRC2:TGID_Y_EN: 0
; COMPUTE_PGM_RSRC2:TGID_Z_EN: 1
; COMPUTE_PGM_RSRC2:TIDIG_COMP_CNT: 0
	.section	.text._ZN9rocsolver6v33100L18larfg_kernel_smallILi128E19rocblas_complex_numIdEidPS3_EEvT1_T3_llPT2_llS6_lS5_lPT0_l,"axG",@progbits,_ZN9rocsolver6v33100L18larfg_kernel_smallILi128E19rocblas_complex_numIdEidPS3_EEvT1_T3_llPT2_llS6_lS5_lPT0_l,comdat
	.globl	_ZN9rocsolver6v33100L18larfg_kernel_smallILi128E19rocblas_complex_numIdEidPS3_EEvT1_T3_llPT2_llS6_lS5_lPT0_l ; -- Begin function _ZN9rocsolver6v33100L18larfg_kernel_smallILi128E19rocblas_complex_numIdEidPS3_EEvT1_T3_llPT2_llS6_lS5_lPT0_l
	.p2align	8
	.type	_ZN9rocsolver6v33100L18larfg_kernel_smallILi128E19rocblas_complex_numIdEidPS3_EEvT1_T3_llPT2_llS6_lS5_lPT0_l,@function
_ZN9rocsolver6v33100L18larfg_kernel_smallILi128E19rocblas_complex_numIdEidPS3_EEvT1_T3_llPT2_llS6_lS5_lPT0_l: ; @_ZN9rocsolver6v33100L18larfg_kernel_smallILi128E19rocblas_complex_numIdEidPS3_EEvT1_T3_llPT2_llS6_lS5_lPT0_l
; %bb.0:
	s_load_dwordx16 s[8:23], s[4:5], 0x8
	s_ashr_i32 s6, s7, 31
	s_mov_b64 s[24:25], 0
	s_waitcnt lgkmcnt(0)
	s_cmp_eq_u64 s[14:15], 0
	s_cbranch_scc1 .LBB1_2
; %bb.1:
	s_mul_i32 s0, s18, s6
	s_mul_hi_u32 s1, s18, s7
	s_add_i32 s0, s1, s0
	s_mul_i32 s1, s19, s7
	s_add_i32 s1, s0, s1
	s_mul_i32 s0, s18, s7
	s_lshl_b64 s[0:1], s[0:1], 3
	s_add_u32 s2, s14, s0
	s_addc_u32 s3, s15, s1
	s_lshl_b64 s[0:1], s[16:17], 3
	s_add_u32 s24, s2, s0
	s_addc_u32 s25, s3, s1
.LBB1_2:
	s_load_dwordx4 s[0:3], s[4:5], 0x50
	s_load_dword s16, s[4:5], 0x0
	s_load_dword s26, s[4:5], 0x48
	s_load_dwordx2 s[14:15], s[4:5], 0x60
	v_mov_b32_e32 v1, 0
	s_waitcnt lgkmcnt(0)
	s_mul_i32 s4, s0, s6
	s_mul_hi_u32 s5, s0, s7
	s_add_i32 s4, s5, s4
	s_mul_i32 s1, s1, s7
	s_add_i32 s1, s4, s1
	s_mul_i32 s0, s0, s7
	s_lshl_b64 s[0:1], s[0:1], 4
	s_add_u32 s4, s20, s0
	s_addc_u32 s5, s21, s1
	s_lshl_b64 s[0:1], s[22:23], 4
	v_mul_lo_u32 v5, v0, s26
	s_add_u32 s20, s4, s0
	s_addc_u32 s22, s5, s1
	s_add_i32 s21, s16, -1
	v_mov_b32_e32 v3, 0
	v_mov_b32_e32 v2, 0
	;; [unrolled: 1-line block ×3, first 2 shown]
	v_cmp_gt_i32_e64 s[0:1], s21, v0
	s_and_saveexec_b64 s[4:5], s[0:1]
	s_cbranch_execz .LBB1_6
; %bb.3:
	v_mul_lo_u32 v6, v0, s26
	v_mov_b32_e32 v1, 0
	v_mov_b32_e32 v3, 0
	s_lshl_b32 s18, s26, 7
	v_mov_b32_e32 v2, 0
	s_mov_b64 s[16:17], 0
	v_mov_b32_e32 v8, s22
	v_mov_b32_e32 v4, 0
	;; [unrolled: 1-line block ×3, first 2 shown]
.LBB1_4:                                ; =>This Inner Loop Header: Depth=1
	v_ashrrev_i32_e32 v7, 31, v6
	v_lshlrev_b64 v[10:11], 4, v[6:7]
	v_add_u32_e32 v9, 0x80, v9
	v_add_co_u32_e32 v10, vcc, s20, v10
	v_addc_co_u32_e32 v11, vcc, v8, v11, vcc
	global_load_dwordx4 v[10:13], v[10:11], off
	v_cmp_le_i32_e32 vcc, s21, v9
	s_or_b64 s[16:17], vcc, s[16:17]
	v_add_u32_e32 v6, s18, v6
	s_waitcnt vmcnt(0)
	v_mul_f64 v[14:15], v[12:13], v[12:13]
	v_mul_f64 v[16:17], v[10:11], v[12:13]
	v_fma_f64 v[14:15], v[10:11], v[10:11], v[14:15]
	v_fma_f64 v[10:11], v[10:11], v[12:13], -v[16:17]
	v_add_f64 v[3:4], v[3:4], v[14:15]
	v_add_f64 v[1:2], v[1:2], v[10:11]
	s_andn2_b64 exec, exec, s[16:17]
	s_cbranch_execnz .LBB1_4
; %bb.5:
	s_or_b64 exec, exec, s[16:17]
.LBB1_6:
	s_or_b64 exec, exec, s[4:5]
	v_mbcnt_lo_u32_b32 v6, -1, 0
	v_mbcnt_hi_u32_b32 v10, -1, v6
	v_and_b32_e32 v11, 63, v10
	v_cmp_ne_u32_e32 vcc, 63, v11
	v_addc_co_u32_e32 v6, vcc, 0, v10, vcc
	v_lshlrev_b32_e32 v9, 2, v6
	ds_bpermute_b32 v6, v9, v3
	ds_bpermute_b32 v7, v9, v4
	;; [unrolled: 1-line block ×4, first 2 shown]
	v_cmp_gt_u32_e32 vcc, 62, v11
	s_waitcnt lgkmcnt(2)
	v_add_f64 v[3:4], v[3:4], v[6:7]
	v_cndmask_b32_e64 v6, 0, 2, vcc
	s_waitcnt lgkmcnt(0)
	v_add_f64 v[1:2], v[1:2], v[8:9]
	v_add_lshl_u32 v9, v6, v10, 2
	v_cmp_gt_u32_e32 vcc, 60, v11
	ds_bpermute_b32 v6, v9, v3
	ds_bpermute_b32 v7, v9, v4
	ds_bpermute_b32 v8, v9, v1
	ds_bpermute_b32 v9, v9, v2
	s_waitcnt lgkmcnt(2)
	v_add_f64 v[3:4], v[3:4], v[6:7]
	v_cndmask_b32_e64 v6, 0, 4, vcc
	s_waitcnt lgkmcnt(0)
	v_add_f64 v[1:2], v[1:2], v[8:9]
	v_add_lshl_u32 v9, v6, v10, 2
	v_cmp_gt_u32_e32 vcc, 56, v11
	ds_bpermute_b32 v6, v9, v3
	ds_bpermute_b32 v7, v9, v4
	ds_bpermute_b32 v8, v9, v1
	ds_bpermute_b32 v9, v9, v2
	;; [unrolled: 11-line block ×3, first 2 shown]
	s_waitcnt lgkmcnt(2)
	v_add_f64 v[3:4], v[3:4], v[6:7]
	v_cndmask_b32_e64 v6, 0, 16, vcc
	s_waitcnt lgkmcnt(0)
	v_add_f64 v[1:2], v[1:2], v[8:9]
	v_add_lshl_u32 v9, v6, v10, 2
	ds_bpermute_b32 v6, v9, v3
	ds_bpermute_b32 v7, v9, v4
	;; [unrolled: 1-line block ×4, first 2 shown]
	s_waitcnt lgkmcnt(2)
	v_add_f64 v[3:4], v[3:4], v[6:7]
	s_waitcnt lgkmcnt(0)
	v_add_f64 v[6:7], v[1:2], v[8:9]
	v_mov_b32_e32 v1, 0x80
	v_lshl_or_b32 v9, v10, 2, v1
	ds_bpermute_b32 v1, v9, v3
	ds_bpermute_b32 v2, v9, v4
	;; [unrolled: 1-line block ×4, first 2 shown]
	s_waitcnt lgkmcnt(2)
	v_add_f64 v[1:2], v[3:4], v[1:2]
	s_waitcnt lgkmcnt(0)
	v_add_f64 v[3:4], v[6:7], v[8:9]
	v_and_b32_e32 v6, 63, v0
	v_cmp_eq_u32_e32 vcc, 0, v6
	s_and_saveexec_b64 s[4:5], vcc
; %bb.7:
	v_lshrrev_b32_e32 v6, 2, v0
	ds_write_b128 v6, v[1:4]
; %bb.8:
	s_or_b64 exec, exec, s[4:5]
	v_cmp_eq_u32_e32 vcc, 0, v0
	s_waitcnt lgkmcnt(0)
	s_barrier
	s_and_saveexec_b64 s[4:5], vcc
	s_cbranch_execz .LBB1_10
; %bb.9:
	v_mov_b32_e32 v10, 0
	ds_read_b128 v[6:9], v10 offset:16
	s_waitcnt lgkmcnt(0)
	v_add_f64 v[3:4], v[3:4], v[8:9]
	v_add_f64 v[1:2], v[1:2], v[6:7]
	ds_write_b128 v10, v[1:4]
.LBB1_10:
	s_or_b64 exec, exec, s[4:5]
	s_waitcnt lgkmcnt(0)
	s_barrier
	s_and_saveexec_b64 s[4:5], vcc
	s_cbranch_execz .LBB1_20
; %bb.11:
	s_mul_i32 s16, s12, s6
	s_mul_hi_u32 s17, s12, s7
	s_add_i32 s16, s17, s16
	s_mul_i32 s13, s13, s7
	s_add_i32 s13, s16, s13
	s_mul_i32 s12, s12, s7
	s_lshl_b64 s[12:13], s[12:13], 4
	s_add_u32 s12, s8, s12
	s_addc_u32 s13, s9, s13
	s_lshl_b64 s[8:9], s[10:11], 4
	s_add_u32 s8, s12, s8
	s_addc_u32 s9, s13, s9
	v_mov_b32_e32 v1, 0
	s_load_dwordx2 s[10:11], s[8:9], 0x8
	ds_read_b64 v[8:9], v1
	s_mul_i32 s6, s14, s6
	s_mul_hi_u32 s12, s14, s7
	s_add_i32 s6, s12, s6
	s_waitcnt lgkmcnt(0)
	v_mul_f64 v[6:7], s[10:11], s[10:11]
	v_max_f64 v[2:3], v[8:9], v[8:9]
	s_mul_i32 s12, s15, s7
	s_add_i32 s13, s6, s12
	s_mul_i32 s12, s14, s7
	s_lshl_b64 s[6:7], s[12:13], 4
	s_add_u32 s6, s2, s6
	s_addc_u32 s7, s3, s7
	s_cmp_eq_u64 s[24:25], 0
	v_max_f64 v[2:3], v[2:3], v[6:7]
	s_cselect_b64 s[14:15], -1, 0
	s_cmp_lg_u64 s[24:25], 0
	s_mov_b64 s[2:3], 0
	s_cselect_b64 s[12:13], -1, 0
	v_cmp_nlt_f64_e32 vcc, 0, v[2:3]
	s_cbranch_vccz .LBB1_14
; %bb.12:
	v_mov_b32_e32 v2, 0x3ff00000
	v_mov_b32_e32 v3, v1
	;; [unrolled: 1-line block ×3, first 2 shown]
	ds_write_b128 v1, v[1:4]
	v_mov_b32_e32 v2, v1
	s_mov_b64 s[18:19], 0
	s_and_b64 vcc, exec, s[12:13]
	global_store_dwordx4 v1, v[1:4], s[6:7]
                                        ; implicit-def: $vgpr3_vgpr4
	s_cbranch_vccz .LBB1_15
; %bb.13:
	v_mov_b32_e32 v1, 0
	global_load_dwordx2 v[1:2], v1, s[8:9]
	s_mov_b64 s[16:17], -1
	s_and_b64 vcc, exec, s[18:19]
	s_cbranch_vccnz .LBB1_16
	s_branch .LBB1_17
.LBB1_14:
	s_mov_b64 s[18:19], -1
.LBB1_15:
	s_mov_b64 s[16:17], 0
                                        ; implicit-def: $vgpr1_vgpr2
	s_and_b64 vcc, exec, s[18:19]
	s_cbranch_vccz .LBB1_17
.LBB1_16:
	v_mov_b32_e32 v24, 0
	global_load_dwordx2 v[3:4], v24, s[8:9]
	s_mov_b32 s2, 0
	s_brev_b32 s3, 8
	s_waitcnt vmcnt(0)
	v_fma_f64 v[1:2], v[3:4], v[3:4], v[6:7]
	v_add_f64 v[1:2], v[8:9], v[1:2]
	v_cmp_gt_f64_e32 vcc, s[2:3], v[1:2]
	s_and_b64 s[2:3], vcc, exec
	s_cselect_b32 s2, 0x100, 0
	v_ldexp_f64 v[1:2], v[1:2], s2
	s_cselect_b32 s2, 0xffffff80, 0
	v_rsq_f64_e32 v[8:9], v[1:2]
	v_mul_f64 v[10:11], v[1:2], v[8:9]
	v_mul_f64 v[8:9], v[8:9], 0.5
	v_fma_f64 v[12:13], -v[8:9], v[10:11], 0.5
	v_fma_f64 v[10:11], v[10:11], v[12:13], v[10:11]
	v_fma_f64 v[8:9], v[8:9], v[12:13], v[8:9]
	v_fma_f64 v[12:13], -v[10:11], v[10:11], v[1:2]
	v_fma_f64 v[10:11], v[12:13], v[8:9], v[10:11]
	v_fma_f64 v[12:13], -v[10:11], v[10:11], v[1:2]
	v_fma_f64 v[8:9], v[12:13], v[8:9], v[10:11]
	v_mov_b32_e32 v10, 0x260
	v_cmp_class_f64_e32 vcc, v[1:2], v10
	v_ldexp_f64 v[8:9], v[8:9], s2
	v_cndmask_b32_e32 v1, v8, v1, vcc
	v_cndmask_b32_e32 v2, v9, v2, vcc
	v_cmp_le_f64_e32 vcc, 0, v[3:4]
	v_xor_b32_e32 v8, 0x80000000, v2
	v_cndmask_b32_e32 v2, v2, v8, vcc
	v_add_f64 v[8:9], v[3:4], -v[1:2]
	v_add_f64 v[3:4], v[1:2], -v[3:4]
	v_fma_f64 v[10:11], v[8:9], v[8:9], v[6:7]
	v_div_scale_f64 v[6:7], s[2:3], v[10:11], v[10:11], v[8:9]
	v_div_scale_f64 v[12:13], s[2:3], v[10:11], v[10:11], -s[10:11]
	v_rcp_f64_e32 v[14:15], v[6:7]
	v_rcp_f64_e32 v[16:17], v[12:13]
	v_fma_f64 v[18:19], -v[6:7], v[14:15], 1.0
	v_fma_f64 v[20:21], -v[12:13], v[16:17], 1.0
	v_fma_f64 v[14:15], v[14:15], v[18:19], v[14:15]
	v_fma_f64 v[16:17], v[16:17], v[20:21], v[16:17]
	v_div_scale_f64 v[20:21], vcc, v[8:9], v[10:11], v[8:9]
	v_fma_f64 v[18:19], -v[6:7], v[14:15], 1.0
	v_fma_f64 v[14:15], v[14:15], v[18:19], v[14:15]
	v_fma_f64 v[18:19], -v[12:13], v[16:17], 1.0
	v_fma_f64 v[16:17], v[16:17], v[18:19], v[16:17]
	v_mul_f64 v[18:19], v[20:21], v[14:15]
	v_fma_f64 v[6:7], -v[6:7], v[18:19], v[20:21]
	v_div_scale_f64 v[20:21], s[2:3], -s[10:11], v[10:11], -s[10:11]
	v_div_fmas_f64 v[6:7], v[6:7], v[14:15], v[18:19]
	v_div_scale_f64 v[14:15], s[16:17], v[1:2], v[1:2], v[3:4]
	s_mov_b64 vcc, s[2:3]
	s_mov_b64 s[16:17], s[12:13]
	v_mul_f64 v[18:19], v[20:21], v[16:17]
	v_div_fixup_f64 v[6:7], v[6:7], v[10:11], v[8:9]
	v_fma_f64 v[12:13], -v[12:13], v[18:19], v[20:21]
	v_rcp_f64_e32 v[20:21], v[14:15]
	v_div_fmas_f64 v[12:13], v[12:13], v[16:17], v[18:19]
	v_div_scale_f64 v[16:17], vcc, v[3:4], v[1:2], v[3:4]
	v_fma_f64 v[22:23], -v[14:15], v[20:21], 1.0
	v_div_fixup_f64 v[8:9], v[12:13], v[10:11], -s[10:11]
	v_fma_f64 v[20:21], v[20:21], v[22:23], v[20:21]
	ds_write_b128 v24, v[6:9]
	v_fma_f64 v[18:19], -v[14:15], v[20:21], 1.0
	v_fma_f64 v[18:19], v[20:21], v[18:19], v[20:21]
	v_mul_f64 v[20:21], v[16:17], v[18:19]
	v_fma_f64 v[14:15], -v[14:15], v[20:21], v[16:17]
	v_div_scale_f64 v[16:17], s[2:3], v[1:2], v[1:2], -s[10:11]
	s_mov_b64 s[2:3], s[14:15]
	v_div_fmas_f64 v[14:15], v[14:15], v[18:19], v[20:21]
	v_rcp_f64_e32 v[18:19], v[16:17]
	v_div_fixup_f64 v[10:11], v[14:15], v[1:2], v[3:4]
	v_fma_f64 v[20:21], -v[16:17], v[18:19], 1.0
	v_fma_f64 v[18:19], v[18:19], v[20:21], v[18:19]
	v_fma_f64 v[20:21], -v[16:17], v[18:19], 1.0
	v_fma_f64 v[18:19], v[18:19], v[20:21], v[18:19]
	v_div_scale_f64 v[20:21], vcc, -s[10:11], v[1:2], -s[10:11]
	v_mul_f64 v[22:23], v[20:21], v[18:19]
	v_fma_f64 v[16:17], -v[16:17], v[22:23], v[20:21]
	s_nop 1
	v_div_fmas_f64 v[16:17], v[16:17], v[18:19], v[22:23]
	v_div_fixup_f64 v[12:13], v[16:17], v[1:2], -s[10:11]
	global_store_dwordx4 v24, v[10:13], s[6:7]
.LBB1_17:
	s_andn2_b64 vcc, exec, s[16:17]
	s_cbranch_vccz .LBB1_24
; %bb.18:
	s_andn2_b64 vcc, exec, s[2:3]
	s_cbranch_vccnz .LBB1_20
.LBB1_19:
	v_mov_b32_e32 v3, 0
	v_mov_b32_e32 v4, v3
	s_waitcnt vmcnt(0)
	global_store_dwordx4 v3, v[1:4], s[8:9]
.LBB1_20:
	s_or_b64 exec, exec, s[4:5]
	s_waitcnt vmcnt(0) lgkmcnt(0)
	s_barrier
	s_and_saveexec_b64 s[2:3], s[0:1]
	s_cbranch_execz .LBB1_23
; %bb.21:
	v_mov_b32_e32 v1, 0
	ds_read_b128 v[1:4], v1
	s_lshl_b32 s2, s26, 7
	s_mov_b64 s[0:1], 0
	v_mov_b32_e32 v7, s22
.LBB1_22:                               ; =>This Inner Loop Header: Depth=1
	v_ashrrev_i32_e32 v6, 31, v5
	v_lshlrev_b64 v[8:9], 4, v[5:6]
	v_add_u32_e32 v0, 0x80, v0
	v_add_co_u32_e32 v14, vcc, s20, v8
	v_addc_co_u32_e32 v15, vcc, v7, v9, vcc
	global_load_dwordx4 v[8:11], v[14:15], off
	v_cmp_le_i32_e32 vcc, s21, v0
	s_or_b64 s[0:1], vcc, s[0:1]
	v_add_u32_e32 v5, s2, v5
	s_waitcnt vmcnt(0) lgkmcnt(0)
	v_mul_f64 v[12:13], v[3:4], v[10:11]
	v_mul_f64 v[16:17], v[1:2], v[10:11]
	v_fma_f64 v[10:11], v[1:2], v[8:9], -v[12:13]
	v_fma_f64 v[12:13], v[3:4], v[8:9], v[16:17]
	global_store_dwordx4 v[14:15], v[10:13], off
	s_andn2_b64 exec, exec, s[0:1]
	s_cbranch_execnz .LBB1_22
.LBB1_23:
	s_endpgm
.LBB1_24:
	v_mov_b32_e32 v3, 0
	s_waitcnt vmcnt(0)
	global_store_dwordx2 v3, v[1:2], s[24:25]
	v_mov_b32_e32 v1, 0
	v_mov_b32_e32 v2, 0x3ff00000
	s_branch .LBB1_19
	.section	.rodata,"a",@progbits
	.p2align	6, 0x0
	.amdhsa_kernel _ZN9rocsolver6v33100L18larfg_kernel_smallILi128E19rocblas_complex_numIdEidPS3_EEvT1_T3_llPT2_llS6_lS5_lPT0_l
		.amdhsa_group_segment_fixed_size 32
		.amdhsa_private_segment_fixed_size 0
		.amdhsa_kernarg_size 104
		.amdhsa_user_sgpr_count 6
		.amdhsa_user_sgpr_private_segment_buffer 1
		.amdhsa_user_sgpr_dispatch_ptr 0
		.amdhsa_user_sgpr_queue_ptr 0
		.amdhsa_user_sgpr_kernarg_segment_ptr 1
		.amdhsa_user_sgpr_dispatch_id 0
		.amdhsa_user_sgpr_flat_scratch_init 0
		.amdhsa_user_sgpr_private_segment_size 0
		.amdhsa_uses_dynamic_stack 0
		.amdhsa_system_sgpr_private_segment_wavefront_offset 0
		.amdhsa_system_sgpr_workgroup_id_x 1
		.amdhsa_system_sgpr_workgroup_id_y 0
		.amdhsa_system_sgpr_workgroup_id_z 1
		.amdhsa_system_sgpr_workgroup_info 0
		.amdhsa_system_vgpr_workitem_id 0
		.amdhsa_next_free_vgpr 25
		.amdhsa_next_free_sgpr 27
		.amdhsa_reserve_vcc 1
		.amdhsa_reserve_flat_scratch 0
		.amdhsa_float_round_mode_32 0
		.amdhsa_float_round_mode_16_64 0
		.amdhsa_float_denorm_mode_32 3
		.amdhsa_float_denorm_mode_16_64 3
		.amdhsa_dx10_clamp 1
		.amdhsa_ieee_mode 1
		.amdhsa_fp16_overflow 0
		.amdhsa_exception_fp_ieee_invalid_op 0
		.amdhsa_exception_fp_denorm_src 0
		.amdhsa_exception_fp_ieee_div_zero 0
		.amdhsa_exception_fp_ieee_overflow 0
		.amdhsa_exception_fp_ieee_underflow 0
		.amdhsa_exception_fp_ieee_inexact 0
		.amdhsa_exception_int_div_zero 0
	.end_amdhsa_kernel
	.section	.text._ZN9rocsolver6v33100L18larfg_kernel_smallILi128E19rocblas_complex_numIdEidPS3_EEvT1_T3_llPT2_llS6_lS5_lPT0_l,"axG",@progbits,_ZN9rocsolver6v33100L18larfg_kernel_smallILi128E19rocblas_complex_numIdEidPS3_EEvT1_T3_llPT2_llS6_lS5_lPT0_l,comdat
.Lfunc_end1:
	.size	_ZN9rocsolver6v33100L18larfg_kernel_smallILi128E19rocblas_complex_numIdEidPS3_EEvT1_T3_llPT2_llS6_lS5_lPT0_l, .Lfunc_end1-_ZN9rocsolver6v33100L18larfg_kernel_smallILi128E19rocblas_complex_numIdEidPS3_EEvT1_T3_llPT2_llS6_lS5_lPT0_l
                                        ; -- End function
	.set _ZN9rocsolver6v33100L18larfg_kernel_smallILi128E19rocblas_complex_numIdEidPS3_EEvT1_T3_llPT2_llS6_lS5_lPT0_l.num_vgpr, 25
	.set _ZN9rocsolver6v33100L18larfg_kernel_smallILi128E19rocblas_complex_numIdEidPS3_EEvT1_T3_llPT2_llS6_lS5_lPT0_l.num_agpr, 0
	.set _ZN9rocsolver6v33100L18larfg_kernel_smallILi128E19rocblas_complex_numIdEidPS3_EEvT1_T3_llPT2_llS6_lS5_lPT0_l.numbered_sgpr, 27
	.set _ZN9rocsolver6v33100L18larfg_kernel_smallILi128E19rocblas_complex_numIdEidPS3_EEvT1_T3_llPT2_llS6_lS5_lPT0_l.num_named_barrier, 0
	.set _ZN9rocsolver6v33100L18larfg_kernel_smallILi128E19rocblas_complex_numIdEidPS3_EEvT1_T3_llPT2_llS6_lS5_lPT0_l.private_seg_size, 0
	.set _ZN9rocsolver6v33100L18larfg_kernel_smallILi128E19rocblas_complex_numIdEidPS3_EEvT1_T3_llPT2_llS6_lS5_lPT0_l.uses_vcc, 1
	.set _ZN9rocsolver6v33100L18larfg_kernel_smallILi128E19rocblas_complex_numIdEidPS3_EEvT1_T3_llPT2_llS6_lS5_lPT0_l.uses_flat_scratch, 0
	.set _ZN9rocsolver6v33100L18larfg_kernel_smallILi128E19rocblas_complex_numIdEidPS3_EEvT1_T3_llPT2_llS6_lS5_lPT0_l.has_dyn_sized_stack, 0
	.set _ZN9rocsolver6v33100L18larfg_kernel_smallILi128E19rocblas_complex_numIdEidPS3_EEvT1_T3_llPT2_llS6_lS5_lPT0_l.has_recursion, 0
	.set _ZN9rocsolver6v33100L18larfg_kernel_smallILi128E19rocblas_complex_numIdEidPS3_EEvT1_T3_llPT2_llS6_lS5_lPT0_l.has_indirect_call, 0
	.section	.AMDGPU.csdata,"",@progbits
; Kernel info:
; codeLenInByte = 1984
; TotalNumSgprs: 31
; NumVgprs: 25
; ScratchSize: 0
; MemoryBound: 0
; FloatMode: 240
; IeeeMode: 1
; LDSByteSize: 32 bytes/workgroup (compile time only)
; SGPRBlocks: 3
; VGPRBlocks: 6
; NumSGPRsForWavesPerEU: 31
; NumVGPRsForWavesPerEU: 25
; Occupancy: 9
; WaveLimiterHint : 1
; COMPUTE_PGM_RSRC2:SCRATCH_EN: 0
; COMPUTE_PGM_RSRC2:USER_SGPR: 6
; COMPUTE_PGM_RSRC2:TRAP_HANDLER: 0
; COMPUTE_PGM_RSRC2:TGID_X_EN: 1
; COMPUTE_PGM_RSRC2:TGID_Y_EN: 0
; COMPUTE_PGM_RSRC2:TGID_Z_EN: 1
; COMPUTE_PGM_RSRC2:TIDIG_COMP_CNT: 0
	.section	.text._ZN9rocsolver6v33100L18larfg_kernel_smallILi256E19rocblas_complex_numIdEidPS3_EEvT1_T3_llPT2_llS6_lS5_lPT0_l,"axG",@progbits,_ZN9rocsolver6v33100L18larfg_kernel_smallILi256E19rocblas_complex_numIdEidPS3_EEvT1_T3_llPT2_llS6_lS5_lPT0_l,comdat
	.globl	_ZN9rocsolver6v33100L18larfg_kernel_smallILi256E19rocblas_complex_numIdEidPS3_EEvT1_T3_llPT2_llS6_lS5_lPT0_l ; -- Begin function _ZN9rocsolver6v33100L18larfg_kernel_smallILi256E19rocblas_complex_numIdEidPS3_EEvT1_T3_llPT2_llS6_lS5_lPT0_l
	.p2align	8
	.type	_ZN9rocsolver6v33100L18larfg_kernel_smallILi256E19rocblas_complex_numIdEidPS3_EEvT1_T3_llPT2_llS6_lS5_lPT0_l,@function
_ZN9rocsolver6v33100L18larfg_kernel_smallILi256E19rocblas_complex_numIdEidPS3_EEvT1_T3_llPT2_llS6_lS5_lPT0_l: ; @_ZN9rocsolver6v33100L18larfg_kernel_smallILi256E19rocblas_complex_numIdEidPS3_EEvT1_T3_llPT2_llS6_lS5_lPT0_l
; %bb.0:
	s_load_dwordx16 s[8:23], s[4:5], 0x8
	s_ashr_i32 s6, s7, 31
	s_mov_b64 s[24:25], 0
	s_waitcnt lgkmcnt(0)
	s_cmp_eq_u64 s[14:15], 0
	s_cbranch_scc1 .LBB2_2
; %bb.1:
	s_mul_i32 s0, s18, s6
	s_mul_hi_u32 s1, s18, s7
	s_add_i32 s0, s1, s0
	s_mul_i32 s1, s19, s7
	s_add_i32 s1, s0, s1
	s_mul_i32 s0, s18, s7
	s_lshl_b64 s[0:1], s[0:1], 3
	s_add_u32 s2, s14, s0
	s_addc_u32 s3, s15, s1
	s_lshl_b64 s[0:1], s[16:17], 3
	s_add_u32 s24, s2, s0
	s_addc_u32 s25, s3, s1
.LBB2_2:
	s_load_dwordx4 s[0:3], s[4:5], 0x50
	s_load_dword s16, s[4:5], 0x0
	s_load_dword s26, s[4:5], 0x48
	s_load_dwordx2 s[14:15], s[4:5], 0x60
	v_mov_b32_e32 v1, 0
	s_waitcnt lgkmcnt(0)
	s_mul_i32 s4, s0, s6
	s_mul_hi_u32 s5, s0, s7
	s_add_i32 s4, s5, s4
	s_mul_i32 s1, s1, s7
	s_add_i32 s1, s4, s1
	s_mul_i32 s0, s0, s7
	s_lshl_b64 s[0:1], s[0:1], 4
	s_add_u32 s4, s20, s0
	s_addc_u32 s5, s21, s1
	s_lshl_b64 s[0:1], s[22:23], 4
	v_mul_lo_u32 v5, v0, s26
	s_add_u32 s20, s4, s0
	s_addc_u32 s22, s5, s1
	s_add_i32 s21, s16, -1
	v_mov_b32_e32 v3, 0
	v_mov_b32_e32 v2, 0
	;; [unrolled: 1-line block ×3, first 2 shown]
	v_cmp_gt_i32_e64 s[0:1], s21, v0
	s_and_saveexec_b64 s[4:5], s[0:1]
	s_cbranch_execz .LBB2_6
; %bb.3:
	v_mul_lo_u32 v6, v0, s26
	v_mov_b32_e32 v1, 0
	v_mov_b32_e32 v3, 0
	s_lshl_b32 s18, s26, 8
	v_mov_b32_e32 v2, 0
	s_mov_b64 s[16:17], 0
	v_mov_b32_e32 v8, s22
	v_mov_b32_e32 v4, 0
	;; [unrolled: 1-line block ×3, first 2 shown]
.LBB2_4:                                ; =>This Inner Loop Header: Depth=1
	v_ashrrev_i32_e32 v7, 31, v6
	v_lshlrev_b64 v[10:11], 4, v[6:7]
	v_add_u32_e32 v9, 0x100, v9
	v_add_co_u32_e32 v10, vcc, s20, v10
	v_addc_co_u32_e32 v11, vcc, v8, v11, vcc
	global_load_dwordx4 v[10:13], v[10:11], off
	v_cmp_le_i32_e32 vcc, s21, v9
	s_or_b64 s[16:17], vcc, s[16:17]
	v_add_u32_e32 v6, s18, v6
	s_waitcnt vmcnt(0)
	v_mul_f64 v[14:15], v[12:13], v[12:13]
	v_mul_f64 v[16:17], v[10:11], v[12:13]
	v_fma_f64 v[14:15], v[10:11], v[10:11], v[14:15]
	v_fma_f64 v[10:11], v[10:11], v[12:13], -v[16:17]
	v_add_f64 v[3:4], v[3:4], v[14:15]
	v_add_f64 v[1:2], v[1:2], v[10:11]
	s_andn2_b64 exec, exec, s[16:17]
	s_cbranch_execnz .LBB2_4
; %bb.5:
	s_or_b64 exec, exec, s[16:17]
.LBB2_6:
	s_or_b64 exec, exec, s[4:5]
	v_mbcnt_lo_u32_b32 v6, -1, 0
	v_mbcnt_hi_u32_b32 v10, -1, v6
	v_and_b32_e32 v11, 63, v10
	v_cmp_ne_u32_e32 vcc, 63, v11
	v_addc_co_u32_e32 v6, vcc, 0, v10, vcc
	v_lshlrev_b32_e32 v9, 2, v6
	ds_bpermute_b32 v6, v9, v3
	ds_bpermute_b32 v7, v9, v4
	;; [unrolled: 1-line block ×4, first 2 shown]
	v_cmp_gt_u32_e32 vcc, 62, v11
	s_waitcnt lgkmcnt(2)
	v_add_f64 v[3:4], v[3:4], v[6:7]
	v_cndmask_b32_e64 v6, 0, 2, vcc
	s_waitcnt lgkmcnt(0)
	v_add_f64 v[1:2], v[1:2], v[8:9]
	v_add_lshl_u32 v9, v6, v10, 2
	v_cmp_gt_u32_e32 vcc, 60, v11
	ds_bpermute_b32 v6, v9, v3
	ds_bpermute_b32 v7, v9, v4
	ds_bpermute_b32 v8, v9, v1
	ds_bpermute_b32 v9, v9, v2
	s_waitcnt lgkmcnt(2)
	v_add_f64 v[3:4], v[3:4], v[6:7]
	v_cndmask_b32_e64 v6, 0, 4, vcc
	s_waitcnt lgkmcnt(0)
	v_add_f64 v[1:2], v[1:2], v[8:9]
	v_add_lshl_u32 v9, v6, v10, 2
	v_cmp_gt_u32_e32 vcc, 56, v11
	ds_bpermute_b32 v6, v9, v3
	ds_bpermute_b32 v7, v9, v4
	ds_bpermute_b32 v8, v9, v1
	ds_bpermute_b32 v9, v9, v2
	;; [unrolled: 11-line block ×3, first 2 shown]
	s_waitcnt lgkmcnt(2)
	v_add_f64 v[3:4], v[3:4], v[6:7]
	v_cndmask_b32_e64 v6, 0, 16, vcc
	s_waitcnt lgkmcnt(0)
	v_add_f64 v[1:2], v[1:2], v[8:9]
	v_add_lshl_u32 v9, v6, v10, 2
	ds_bpermute_b32 v6, v9, v3
	ds_bpermute_b32 v7, v9, v4
	;; [unrolled: 1-line block ×4, first 2 shown]
	s_waitcnt lgkmcnt(2)
	v_add_f64 v[3:4], v[3:4], v[6:7]
	s_waitcnt lgkmcnt(0)
	v_add_f64 v[6:7], v[1:2], v[8:9]
	v_mov_b32_e32 v1, 0x80
	v_lshl_or_b32 v9, v10, 2, v1
	ds_bpermute_b32 v1, v9, v3
	ds_bpermute_b32 v2, v9, v4
	ds_bpermute_b32 v8, v9, v6
	ds_bpermute_b32 v9, v9, v7
	s_waitcnt lgkmcnt(2)
	v_add_f64 v[1:2], v[3:4], v[1:2]
	s_waitcnt lgkmcnt(0)
	v_add_f64 v[3:4], v[6:7], v[8:9]
	v_and_b32_e32 v6, 63, v0
	v_cmp_eq_u32_e32 vcc, 0, v6
	s_and_saveexec_b64 s[4:5], vcc
; %bb.7:
	v_lshrrev_b32_e32 v6, 2, v0
	ds_write_b128 v6, v[1:4]
; %bb.8:
	s_or_b64 exec, exec, s[4:5]
	v_cmp_eq_u32_e32 vcc, 0, v0
	s_waitcnt lgkmcnt(0)
	s_barrier
	s_and_saveexec_b64 s[4:5], vcc
	s_cbranch_execz .LBB2_10
; %bb.9:
	v_mov_b32_e32 v14, 0
	ds_read_b128 v[6:9], v14 offset:16
	ds_read_b128 v[10:13], v14 offset:32
	s_waitcnt lgkmcnt(1)
	v_add_f64 v[1:2], v[1:2], v[6:7]
	v_add_f64 v[3:4], v[3:4], v[8:9]
	s_waitcnt lgkmcnt(0)
	v_add_f64 v[6:7], v[1:2], v[10:11]
	v_add_f64 v[8:9], v[3:4], v[12:13]
	ds_read_b128 v[1:4], v14 offset:48
	s_waitcnt lgkmcnt(0)
	v_add_f64 v[1:2], v[6:7], v[1:2]
	v_add_f64 v[3:4], v[8:9], v[3:4]
	ds_write_b128 v14, v[1:4]
.LBB2_10:
	s_or_b64 exec, exec, s[4:5]
	s_waitcnt lgkmcnt(0)
	s_barrier
	s_and_saveexec_b64 s[4:5], vcc
	s_cbranch_execz .LBB2_20
; %bb.11:
	s_mul_i32 s16, s12, s6
	s_mul_hi_u32 s17, s12, s7
	s_add_i32 s16, s17, s16
	s_mul_i32 s13, s13, s7
	s_add_i32 s13, s16, s13
	s_mul_i32 s12, s12, s7
	s_lshl_b64 s[12:13], s[12:13], 4
	s_add_u32 s12, s8, s12
	s_addc_u32 s13, s9, s13
	s_lshl_b64 s[8:9], s[10:11], 4
	s_add_u32 s8, s12, s8
	s_addc_u32 s9, s13, s9
	v_mov_b32_e32 v1, 0
	s_load_dwordx2 s[10:11], s[8:9], 0x8
	ds_read_b64 v[8:9], v1
	s_mul_i32 s6, s14, s6
	s_mul_hi_u32 s12, s14, s7
	s_add_i32 s6, s12, s6
	s_waitcnt lgkmcnt(0)
	v_mul_f64 v[6:7], s[10:11], s[10:11]
	v_max_f64 v[2:3], v[8:9], v[8:9]
	s_mul_i32 s12, s15, s7
	s_add_i32 s13, s6, s12
	s_mul_i32 s12, s14, s7
	s_lshl_b64 s[6:7], s[12:13], 4
	s_add_u32 s6, s2, s6
	s_addc_u32 s7, s3, s7
	s_cmp_eq_u64 s[24:25], 0
	v_max_f64 v[2:3], v[2:3], v[6:7]
	s_cselect_b64 s[14:15], -1, 0
	s_cmp_lg_u64 s[24:25], 0
	s_mov_b64 s[2:3], 0
	s_cselect_b64 s[12:13], -1, 0
	v_cmp_nlt_f64_e32 vcc, 0, v[2:3]
	s_cbranch_vccz .LBB2_14
; %bb.12:
	v_mov_b32_e32 v2, 0x3ff00000
	v_mov_b32_e32 v3, v1
	;; [unrolled: 1-line block ×3, first 2 shown]
	ds_write_b128 v1, v[1:4]
	v_mov_b32_e32 v2, v1
	s_mov_b64 s[18:19], 0
	s_and_b64 vcc, exec, s[12:13]
	global_store_dwordx4 v1, v[1:4], s[6:7]
                                        ; implicit-def: $vgpr3_vgpr4
	s_cbranch_vccz .LBB2_15
; %bb.13:
	v_mov_b32_e32 v1, 0
	global_load_dwordx2 v[1:2], v1, s[8:9]
	s_mov_b64 s[16:17], -1
	s_and_b64 vcc, exec, s[18:19]
	s_cbranch_vccnz .LBB2_16
	s_branch .LBB2_17
.LBB2_14:
	s_mov_b64 s[18:19], -1
.LBB2_15:
	s_mov_b64 s[16:17], 0
                                        ; implicit-def: $vgpr1_vgpr2
	s_and_b64 vcc, exec, s[18:19]
	s_cbranch_vccz .LBB2_17
.LBB2_16:
	v_mov_b32_e32 v24, 0
	global_load_dwordx2 v[3:4], v24, s[8:9]
	s_mov_b32 s2, 0
	s_brev_b32 s3, 8
	s_waitcnt vmcnt(0)
	v_fma_f64 v[1:2], v[3:4], v[3:4], v[6:7]
	v_add_f64 v[1:2], v[8:9], v[1:2]
	v_cmp_gt_f64_e32 vcc, s[2:3], v[1:2]
	s_and_b64 s[2:3], vcc, exec
	s_cselect_b32 s2, 0x100, 0
	v_ldexp_f64 v[1:2], v[1:2], s2
	s_cselect_b32 s2, 0xffffff80, 0
	v_rsq_f64_e32 v[8:9], v[1:2]
	v_mul_f64 v[10:11], v[1:2], v[8:9]
	v_mul_f64 v[8:9], v[8:9], 0.5
	v_fma_f64 v[12:13], -v[8:9], v[10:11], 0.5
	v_fma_f64 v[10:11], v[10:11], v[12:13], v[10:11]
	v_fma_f64 v[8:9], v[8:9], v[12:13], v[8:9]
	v_fma_f64 v[12:13], -v[10:11], v[10:11], v[1:2]
	v_fma_f64 v[10:11], v[12:13], v[8:9], v[10:11]
	v_fma_f64 v[12:13], -v[10:11], v[10:11], v[1:2]
	v_fma_f64 v[8:9], v[12:13], v[8:9], v[10:11]
	v_mov_b32_e32 v10, 0x260
	v_cmp_class_f64_e32 vcc, v[1:2], v10
	v_ldexp_f64 v[8:9], v[8:9], s2
	v_cndmask_b32_e32 v1, v8, v1, vcc
	v_cndmask_b32_e32 v2, v9, v2, vcc
	v_cmp_le_f64_e32 vcc, 0, v[3:4]
	v_xor_b32_e32 v8, 0x80000000, v2
	v_cndmask_b32_e32 v2, v2, v8, vcc
	v_add_f64 v[8:9], v[3:4], -v[1:2]
	v_add_f64 v[3:4], v[1:2], -v[3:4]
	v_fma_f64 v[10:11], v[8:9], v[8:9], v[6:7]
	v_div_scale_f64 v[6:7], s[2:3], v[10:11], v[10:11], v[8:9]
	v_div_scale_f64 v[12:13], s[2:3], v[10:11], v[10:11], -s[10:11]
	v_rcp_f64_e32 v[14:15], v[6:7]
	v_rcp_f64_e32 v[16:17], v[12:13]
	v_fma_f64 v[18:19], -v[6:7], v[14:15], 1.0
	v_fma_f64 v[20:21], -v[12:13], v[16:17], 1.0
	v_fma_f64 v[14:15], v[14:15], v[18:19], v[14:15]
	v_fma_f64 v[16:17], v[16:17], v[20:21], v[16:17]
	v_div_scale_f64 v[20:21], vcc, v[8:9], v[10:11], v[8:9]
	v_fma_f64 v[18:19], -v[6:7], v[14:15], 1.0
	v_fma_f64 v[14:15], v[14:15], v[18:19], v[14:15]
	v_fma_f64 v[18:19], -v[12:13], v[16:17], 1.0
	v_fma_f64 v[16:17], v[16:17], v[18:19], v[16:17]
	v_mul_f64 v[18:19], v[20:21], v[14:15]
	v_fma_f64 v[6:7], -v[6:7], v[18:19], v[20:21]
	v_div_scale_f64 v[20:21], s[2:3], -s[10:11], v[10:11], -s[10:11]
	v_div_fmas_f64 v[6:7], v[6:7], v[14:15], v[18:19]
	v_div_scale_f64 v[14:15], s[16:17], v[1:2], v[1:2], v[3:4]
	s_mov_b64 vcc, s[2:3]
	s_mov_b64 s[16:17], s[12:13]
	v_mul_f64 v[18:19], v[20:21], v[16:17]
	v_div_fixup_f64 v[6:7], v[6:7], v[10:11], v[8:9]
	v_fma_f64 v[12:13], -v[12:13], v[18:19], v[20:21]
	v_rcp_f64_e32 v[20:21], v[14:15]
	v_div_fmas_f64 v[12:13], v[12:13], v[16:17], v[18:19]
	v_div_scale_f64 v[16:17], vcc, v[3:4], v[1:2], v[3:4]
	v_fma_f64 v[22:23], -v[14:15], v[20:21], 1.0
	v_div_fixup_f64 v[8:9], v[12:13], v[10:11], -s[10:11]
	v_fma_f64 v[20:21], v[20:21], v[22:23], v[20:21]
	ds_write_b128 v24, v[6:9]
	v_fma_f64 v[18:19], -v[14:15], v[20:21], 1.0
	v_fma_f64 v[18:19], v[20:21], v[18:19], v[20:21]
	v_mul_f64 v[20:21], v[16:17], v[18:19]
	v_fma_f64 v[14:15], -v[14:15], v[20:21], v[16:17]
	v_div_scale_f64 v[16:17], s[2:3], v[1:2], v[1:2], -s[10:11]
	s_mov_b64 s[2:3], s[14:15]
	v_div_fmas_f64 v[14:15], v[14:15], v[18:19], v[20:21]
	v_rcp_f64_e32 v[18:19], v[16:17]
	v_div_fixup_f64 v[10:11], v[14:15], v[1:2], v[3:4]
	v_fma_f64 v[20:21], -v[16:17], v[18:19], 1.0
	v_fma_f64 v[18:19], v[18:19], v[20:21], v[18:19]
	v_fma_f64 v[20:21], -v[16:17], v[18:19], 1.0
	v_fma_f64 v[18:19], v[18:19], v[20:21], v[18:19]
	v_div_scale_f64 v[20:21], vcc, -s[10:11], v[1:2], -s[10:11]
	v_mul_f64 v[22:23], v[20:21], v[18:19]
	v_fma_f64 v[16:17], -v[16:17], v[22:23], v[20:21]
	s_nop 1
	v_div_fmas_f64 v[16:17], v[16:17], v[18:19], v[22:23]
	v_div_fixup_f64 v[12:13], v[16:17], v[1:2], -s[10:11]
	global_store_dwordx4 v24, v[10:13], s[6:7]
.LBB2_17:
	s_andn2_b64 vcc, exec, s[16:17]
	s_cbranch_vccz .LBB2_24
; %bb.18:
	s_andn2_b64 vcc, exec, s[2:3]
	s_cbranch_vccnz .LBB2_20
.LBB2_19:
	v_mov_b32_e32 v3, 0
	v_mov_b32_e32 v4, v3
	s_waitcnt vmcnt(0)
	global_store_dwordx4 v3, v[1:4], s[8:9]
.LBB2_20:
	s_or_b64 exec, exec, s[4:5]
	s_waitcnt vmcnt(0) lgkmcnt(0)
	s_barrier
	s_and_saveexec_b64 s[2:3], s[0:1]
	s_cbranch_execz .LBB2_23
; %bb.21:
	v_mov_b32_e32 v1, 0
	ds_read_b128 v[1:4], v1
	s_lshl_b32 s2, s26, 8
	s_mov_b64 s[0:1], 0
	v_mov_b32_e32 v7, s22
.LBB2_22:                               ; =>This Inner Loop Header: Depth=1
	v_ashrrev_i32_e32 v6, 31, v5
	v_lshlrev_b64 v[8:9], 4, v[5:6]
	v_add_u32_e32 v0, 0x100, v0
	v_add_co_u32_e32 v14, vcc, s20, v8
	v_addc_co_u32_e32 v15, vcc, v7, v9, vcc
	global_load_dwordx4 v[8:11], v[14:15], off
	v_cmp_le_i32_e32 vcc, s21, v0
	s_or_b64 s[0:1], vcc, s[0:1]
	v_add_u32_e32 v5, s2, v5
	s_waitcnt vmcnt(0) lgkmcnt(0)
	v_mul_f64 v[12:13], v[3:4], v[10:11]
	v_mul_f64 v[16:17], v[1:2], v[10:11]
	v_fma_f64 v[10:11], v[1:2], v[8:9], -v[12:13]
	v_fma_f64 v[12:13], v[3:4], v[8:9], v[16:17]
	global_store_dwordx4 v[14:15], v[10:13], off
	s_andn2_b64 exec, exec, s[0:1]
	s_cbranch_execnz .LBB2_22
.LBB2_23:
	s_endpgm
.LBB2_24:
	v_mov_b32_e32 v3, 0
	s_waitcnt vmcnt(0)
	global_store_dwordx2 v3, v[1:2], s[24:25]
	v_mov_b32_e32 v1, 0
	v_mov_b32_e32 v2, 0x3ff00000
	s_branch .LBB2_19
	.section	.rodata,"a",@progbits
	.p2align	6, 0x0
	.amdhsa_kernel _ZN9rocsolver6v33100L18larfg_kernel_smallILi256E19rocblas_complex_numIdEidPS3_EEvT1_T3_llPT2_llS6_lS5_lPT0_l
		.amdhsa_group_segment_fixed_size 64
		.amdhsa_private_segment_fixed_size 0
		.amdhsa_kernarg_size 104
		.amdhsa_user_sgpr_count 6
		.amdhsa_user_sgpr_private_segment_buffer 1
		.amdhsa_user_sgpr_dispatch_ptr 0
		.amdhsa_user_sgpr_queue_ptr 0
		.amdhsa_user_sgpr_kernarg_segment_ptr 1
		.amdhsa_user_sgpr_dispatch_id 0
		.amdhsa_user_sgpr_flat_scratch_init 0
		.amdhsa_user_sgpr_private_segment_size 0
		.amdhsa_uses_dynamic_stack 0
		.amdhsa_system_sgpr_private_segment_wavefront_offset 0
		.amdhsa_system_sgpr_workgroup_id_x 1
		.amdhsa_system_sgpr_workgroup_id_y 0
		.amdhsa_system_sgpr_workgroup_id_z 1
		.amdhsa_system_sgpr_workgroup_info 0
		.amdhsa_system_vgpr_workitem_id 0
		.amdhsa_next_free_vgpr 25
		.amdhsa_next_free_sgpr 27
		.amdhsa_reserve_vcc 1
		.amdhsa_reserve_flat_scratch 0
		.amdhsa_float_round_mode_32 0
		.amdhsa_float_round_mode_16_64 0
		.amdhsa_float_denorm_mode_32 3
		.amdhsa_float_denorm_mode_16_64 3
		.amdhsa_dx10_clamp 1
		.amdhsa_ieee_mode 1
		.amdhsa_fp16_overflow 0
		.amdhsa_exception_fp_ieee_invalid_op 0
		.amdhsa_exception_fp_denorm_src 0
		.amdhsa_exception_fp_ieee_div_zero 0
		.amdhsa_exception_fp_ieee_overflow 0
		.amdhsa_exception_fp_ieee_underflow 0
		.amdhsa_exception_fp_ieee_inexact 0
		.amdhsa_exception_int_div_zero 0
	.end_amdhsa_kernel
	.section	.text._ZN9rocsolver6v33100L18larfg_kernel_smallILi256E19rocblas_complex_numIdEidPS3_EEvT1_T3_llPT2_llS6_lS5_lPT0_l,"axG",@progbits,_ZN9rocsolver6v33100L18larfg_kernel_smallILi256E19rocblas_complex_numIdEidPS3_EEvT1_T3_llPT2_llS6_lS5_lPT0_l,comdat
.Lfunc_end2:
	.size	_ZN9rocsolver6v33100L18larfg_kernel_smallILi256E19rocblas_complex_numIdEidPS3_EEvT1_T3_llPT2_llS6_lS5_lPT0_l, .Lfunc_end2-_ZN9rocsolver6v33100L18larfg_kernel_smallILi256E19rocblas_complex_numIdEidPS3_EEvT1_T3_llPT2_llS6_lS5_lPT0_l
                                        ; -- End function
	.set _ZN9rocsolver6v33100L18larfg_kernel_smallILi256E19rocblas_complex_numIdEidPS3_EEvT1_T3_llPT2_llS6_lS5_lPT0_l.num_vgpr, 25
	.set _ZN9rocsolver6v33100L18larfg_kernel_smallILi256E19rocblas_complex_numIdEidPS3_EEvT1_T3_llPT2_llS6_lS5_lPT0_l.num_agpr, 0
	.set _ZN9rocsolver6v33100L18larfg_kernel_smallILi256E19rocblas_complex_numIdEidPS3_EEvT1_T3_llPT2_llS6_lS5_lPT0_l.numbered_sgpr, 27
	.set _ZN9rocsolver6v33100L18larfg_kernel_smallILi256E19rocblas_complex_numIdEidPS3_EEvT1_T3_llPT2_llS6_lS5_lPT0_l.num_named_barrier, 0
	.set _ZN9rocsolver6v33100L18larfg_kernel_smallILi256E19rocblas_complex_numIdEidPS3_EEvT1_T3_llPT2_llS6_lS5_lPT0_l.private_seg_size, 0
	.set _ZN9rocsolver6v33100L18larfg_kernel_smallILi256E19rocblas_complex_numIdEidPS3_EEvT1_T3_llPT2_llS6_lS5_lPT0_l.uses_vcc, 1
	.set _ZN9rocsolver6v33100L18larfg_kernel_smallILi256E19rocblas_complex_numIdEidPS3_EEvT1_T3_llPT2_llS6_lS5_lPT0_l.uses_flat_scratch, 0
	.set _ZN9rocsolver6v33100L18larfg_kernel_smallILi256E19rocblas_complex_numIdEidPS3_EEvT1_T3_llPT2_llS6_lS5_lPT0_l.has_dyn_sized_stack, 0
	.set _ZN9rocsolver6v33100L18larfg_kernel_smallILi256E19rocblas_complex_numIdEidPS3_EEvT1_T3_llPT2_llS6_lS5_lPT0_l.has_recursion, 0
	.set _ZN9rocsolver6v33100L18larfg_kernel_smallILi256E19rocblas_complex_numIdEidPS3_EEvT1_T3_llPT2_llS6_lS5_lPT0_l.has_indirect_call, 0
	.section	.AMDGPU.csdata,"",@progbits
; Kernel info:
; codeLenInByte = 2040
; TotalNumSgprs: 31
; NumVgprs: 25
; ScratchSize: 0
; MemoryBound: 0
; FloatMode: 240
; IeeeMode: 1
; LDSByteSize: 64 bytes/workgroup (compile time only)
; SGPRBlocks: 3
; VGPRBlocks: 6
; NumSGPRsForWavesPerEU: 31
; NumVGPRsForWavesPerEU: 25
; Occupancy: 9
; WaveLimiterHint : 1
; COMPUTE_PGM_RSRC2:SCRATCH_EN: 0
; COMPUTE_PGM_RSRC2:USER_SGPR: 6
; COMPUTE_PGM_RSRC2:TRAP_HANDLER: 0
; COMPUTE_PGM_RSRC2:TGID_X_EN: 1
; COMPUTE_PGM_RSRC2:TGID_Y_EN: 0
; COMPUTE_PGM_RSRC2:TGID_Z_EN: 1
; COMPUTE_PGM_RSRC2:TIDIG_COMP_CNT: 0
	.section	.text._ZN9rocsolver6v33100L18larfg_kernel_smallILi512E19rocblas_complex_numIdEidPS3_EEvT1_T3_llPT2_llS6_lS5_lPT0_l,"axG",@progbits,_ZN9rocsolver6v33100L18larfg_kernel_smallILi512E19rocblas_complex_numIdEidPS3_EEvT1_T3_llPT2_llS6_lS5_lPT0_l,comdat
	.globl	_ZN9rocsolver6v33100L18larfg_kernel_smallILi512E19rocblas_complex_numIdEidPS3_EEvT1_T3_llPT2_llS6_lS5_lPT0_l ; -- Begin function _ZN9rocsolver6v33100L18larfg_kernel_smallILi512E19rocblas_complex_numIdEidPS3_EEvT1_T3_llPT2_llS6_lS5_lPT0_l
	.p2align	8
	.type	_ZN9rocsolver6v33100L18larfg_kernel_smallILi512E19rocblas_complex_numIdEidPS3_EEvT1_T3_llPT2_llS6_lS5_lPT0_l,@function
_ZN9rocsolver6v33100L18larfg_kernel_smallILi512E19rocblas_complex_numIdEidPS3_EEvT1_T3_llPT2_llS6_lS5_lPT0_l: ; @_ZN9rocsolver6v33100L18larfg_kernel_smallILi512E19rocblas_complex_numIdEidPS3_EEvT1_T3_llPT2_llS6_lS5_lPT0_l
; %bb.0:
	s_load_dwordx16 s[8:23], s[4:5], 0x8
	s_ashr_i32 s6, s7, 31
	s_mov_b64 s[24:25], 0
	s_waitcnt lgkmcnt(0)
	s_cmp_eq_u64 s[14:15], 0
	s_cbranch_scc1 .LBB3_2
; %bb.1:
	s_mul_i32 s0, s18, s6
	s_mul_hi_u32 s1, s18, s7
	s_add_i32 s0, s1, s0
	s_mul_i32 s1, s19, s7
	s_add_i32 s1, s0, s1
	s_mul_i32 s0, s18, s7
	s_lshl_b64 s[0:1], s[0:1], 3
	s_add_u32 s2, s14, s0
	s_addc_u32 s3, s15, s1
	s_lshl_b64 s[0:1], s[16:17], 3
	s_add_u32 s24, s2, s0
	s_addc_u32 s25, s3, s1
.LBB3_2:
	s_load_dwordx4 s[0:3], s[4:5], 0x50
	s_load_dword s16, s[4:5], 0x0
	s_load_dword s26, s[4:5], 0x48
	s_load_dwordx2 s[14:15], s[4:5], 0x60
	v_mov_b32_e32 v1, 0
	s_waitcnt lgkmcnt(0)
	s_mul_i32 s4, s0, s6
	s_mul_hi_u32 s5, s0, s7
	s_add_i32 s4, s5, s4
	s_mul_i32 s1, s1, s7
	s_add_i32 s1, s4, s1
	s_mul_i32 s0, s0, s7
	s_lshl_b64 s[0:1], s[0:1], 4
	s_add_u32 s4, s20, s0
	s_addc_u32 s5, s21, s1
	s_lshl_b64 s[0:1], s[22:23], 4
	v_mul_lo_u32 v5, v0, s26
	s_add_u32 s20, s4, s0
	s_addc_u32 s22, s5, s1
	s_add_i32 s21, s16, -1
	v_mov_b32_e32 v3, 0
	v_mov_b32_e32 v2, 0
	;; [unrolled: 1-line block ×3, first 2 shown]
	v_cmp_gt_i32_e64 s[0:1], s21, v0
	s_and_saveexec_b64 s[4:5], s[0:1]
	s_cbranch_execz .LBB3_6
; %bb.3:
	v_mul_lo_u32 v6, v0, s26
	v_mov_b32_e32 v1, 0
	v_mov_b32_e32 v3, 0
	s_lshl_b32 s18, s26, 9
	v_mov_b32_e32 v2, 0
	s_mov_b64 s[16:17], 0
	v_mov_b32_e32 v8, s22
	v_mov_b32_e32 v4, 0
	;; [unrolled: 1-line block ×3, first 2 shown]
.LBB3_4:                                ; =>This Inner Loop Header: Depth=1
	v_ashrrev_i32_e32 v7, 31, v6
	v_lshlrev_b64 v[10:11], 4, v[6:7]
	v_add_u32_e32 v9, 0x200, v9
	v_add_co_u32_e32 v10, vcc, s20, v10
	v_addc_co_u32_e32 v11, vcc, v8, v11, vcc
	global_load_dwordx4 v[10:13], v[10:11], off
	v_cmp_le_i32_e32 vcc, s21, v9
	s_or_b64 s[16:17], vcc, s[16:17]
	v_add_u32_e32 v6, s18, v6
	s_waitcnt vmcnt(0)
	v_mul_f64 v[14:15], v[12:13], v[12:13]
	v_mul_f64 v[16:17], v[10:11], v[12:13]
	v_fma_f64 v[14:15], v[10:11], v[10:11], v[14:15]
	v_fma_f64 v[10:11], v[10:11], v[12:13], -v[16:17]
	v_add_f64 v[3:4], v[3:4], v[14:15]
	v_add_f64 v[1:2], v[1:2], v[10:11]
	s_andn2_b64 exec, exec, s[16:17]
	s_cbranch_execnz .LBB3_4
; %bb.5:
	s_or_b64 exec, exec, s[16:17]
.LBB3_6:
	s_or_b64 exec, exec, s[4:5]
	v_mbcnt_lo_u32_b32 v6, -1, 0
	v_mbcnt_hi_u32_b32 v10, -1, v6
	v_and_b32_e32 v11, 63, v10
	v_cmp_ne_u32_e32 vcc, 63, v11
	v_addc_co_u32_e32 v6, vcc, 0, v10, vcc
	v_lshlrev_b32_e32 v9, 2, v6
	ds_bpermute_b32 v6, v9, v3
	ds_bpermute_b32 v7, v9, v4
	;; [unrolled: 1-line block ×4, first 2 shown]
	v_cmp_gt_u32_e32 vcc, 62, v11
	s_waitcnt lgkmcnt(2)
	v_add_f64 v[3:4], v[3:4], v[6:7]
	v_cndmask_b32_e64 v6, 0, 2, vcc
	s_waitcnt lgkmcnt(0)
	v_add_f64 v[1:2], v[1:2], v[8:9]
	v_add_lshl_u32 v9, v6, v10, 2
	v_cmp_gt_u32_e32 vcc, 60, v11
	ds_bpermute_b32 v6, v9, v3
	ds_bpermute_b32 v7, v9, v4
	ds_bpermute_b32 v8, v9, v1
	ds_bpermute_b32 v9, v9, v2
	s_waitcnt lgkmcnt(2)
	v_add_f64 v[3:4], v[3:4], v[6:7]
	v_cndmask_b32_e64 v6, 0, 4, vcc
	s_waitcnt lgkmcnt(0)
	v_add_f64 v[1:2], v[1:2], v[8:9]
	v_add_lshl_u32 v9, v6, v10, 2
	v_cmp_gt_u32_e32 vcc, 56, v11
	ds_bpermute_b32 v6, v9, v3
	ds_bpermute_b32 v7, v9, v4
	ds_bpermute_b32 v8, v9, v1
	ds_bpermute_b32 v9, v9, v2
	;; [unrolled: 11-line block ×3, first 2 shown]
	s_waitcnt lgkmcnt(2)
	v_add_f64 v[3:4], v[3:4], v[6:7]
	v_cndmask_b32_e64 v6, 0, 16, vcc
	s_waitcnt lgkmcnt(0)
	v_add_f64 v[1:2], v[1:2], v[8:9]
	v_add_lshl_u32 v9, v6, v10, 2
	ds_bpermute_b32 v6, v9, v3
	ds_bpermute_b32 v7, v9, v4
	;; [unrolled: 1-line block ×4, first 2 shown]
	s_waitcnt lgkmcnt(2)
	v_add_f64 v[3:4], v[3:4], v[6:7]
	s_waitcnt lgkmcnt(0)
	v_add_f64 v[6:7], v[1:2], v[8:9]
	v_mov_b32_e32 v1, 0x80
	v_lshl_or_b32 v9, v10, 2, v1
	ds_bpermute_b32 v1, v9, v3
	ds_bpermute_b32 v2, v9, v4
	ds_bpermute_b32 v8, v9, v6
	ds_bpermute_b32 v9, v9, v7
	s_waitcnt lgkmcnt(2)
	v_add_f64 v[1:2], v[3:4], v[1:2]
	s_waitcnt lgkmcnt(0)
	v_add_f64 v[3:4], v[6:7], v[8:9]
	v_and_b32_e32 v6, 63, v0
	v_cmp_eq_u32_e32 vcc, 0, v6
	s_and_saveexec_b64 s[4:5], vcc
; %bb.7:
	v_lshrrev_b32_e32 v6, 2, v0
	ds_write_b128 v6, v[1:4]
; %bb.8:
	s_or_b64 exec, exec, s[4:5]
	v_cmp_eq_u32_e32 vcc, 0, v0
	s_waitcnt lgkmcnt(0)
	s_barrier
	s_and_saveexec_b64 s[4:5], vcc
	s_cbranch_execz .LBB3_10
; %bb.9:
	v_mov_b32_e32 v14, 0
	ds_read_b128 v[6:9], v14 offset:16
	ds_read_b128 v[10:13], v14 offset:32
	s_waitcnt lgkmcnt(1)
	v_add_f64 v[1:2], v[1:2], v[6:7]
	v_add_f64 v[3:4], v[3:4], v[8:9]
	s_waitcnt lgkmcnt(0)
	v_add_f64 v[10:11], v[1:2], v[10:11]
	v_add_f64 v[12:13], v[3:4], v[12:13]
	ds_read_b128 v[1:4], v14 offset:48
	ds_read_b128 v[6:9], v14 offset:64
	s_waitcnt lgkmcnt(1)
	v_add_f64 v[1:2], v[10:11], v[1:2]
	v_add_f64 v[3:4], v[12:13], v[3:4]
	s_waitcnt lgkmcnt(0)
	v_add_f64 v[10:11], v[1:2], v[6:7]
	v_add_f64 v[12:13], v[3:4], v[8:9]
	ds_read_b128 v[1:4], v14 offset:80
	ds_read_b128 v[6:9], v14 offset:96
	s_waitcnt lgkmcnt(1)
	v_add_f64 v[1:2], v[10:11], v[1:2]
	v_add_f64 v[3:4], v[12:13], v[3:4]
	s_waitcnt lgkmcnt(0)
	v_add_f64 v[6:7], v[1:2], v[6:7]
	v_add_f64 v[8:9], v[3:4], v[8:9]
	ds_read_b128 v[1:4], v14 offset:112
	s_waitcnt lgkmcnt(0)
	v_add_f64 v[1:2], v[6:7], v[1:2]
	v_add_f64 v[3:4], v[8:9], v[3:4]
	ds_write_b128 v14, v[1:4]
.LBB3_10:
	s_or_b64 exec, exec, s[4:5]
	s_waitcnt lgkmcnt(0)
	s_barrier
	s_and_saveexec_b64 s[4:5], vcc
	s_cbranch_execz .LBB3_20
; %bb.11:
	s_mul_i32 s16, s12, s6
	s_mul_hi_u32 s17, s12, s7
	s_add_i32 s16, s17, s16
	s_mul_i32 s13, s13, s7
	s_add_i32 s13, s16, s13
	s_mul_i32 s12, s12, s7
	s_lshl_b64 s[12:13], s[12:13], 4
	s_add_u32 s12, s8, s12
	s_addc_u32 s13, s9, s13
	s_lshl_b64 s[8:9], s[10:11], 4
	s_add_u32 s8, s12, s8
	s_addc_u32 s9, s13, s9
	v_mov_b32_e32 v1, 0
	s_load_dwordx2 s[10:11], s[8:9], 0x8
	ds_read_b64 v[8:9], v1
	s_mul_i32 s6, s14, s6
	s_mul_hi_u32 s12, s14, s7
	s_add_i32 s6, s12, s6
	s_waitcnt lgkmcnt(0)
	v_mul_f64 v[6:7], s[10:11], s[10:11]
	v_max_f64 v[2:3], v[8:9], v[8:9]
	s_mul_i32 s12, s15, s7
	s_add_i32 s13, s6, s12
	s_mul_i32 s12, s14, s7
	s_lshl_b64 s[6:7], s[12:13], 4
	s_add_u32 s6, s2, s6
	s_addc_u32 s7, s3, s7
	s_cmp_eq_u64 s[24:25], 0
	v_max_f64 v[2:3], v[2:3], v[6:7]
	s_cselect_b64 s[14:15], -1, 0
	s_cmp_lg_u64 s[24:25], 0
	s_mov_b64 s[2:3], 0
	s_cselect_b64 s[12:13], -1, 0
	v_cmp_nlt_f64_e32 vcc, 0, v[2:3]
	s_cbranch_vccz .LBB3_14
; %bb.12:
	v_mov_b32_e32 v2, 0x3ff00000
	v_mov_b32_e32 v3, v1
	;; [unrolled: 1-line block ×3, first 2 shown]
	ds_write_b128 v1, v[1:4]
	v_mov_b32_e32 v2, v1
	s_mov_b64 s[18:19], 0
	s_and_b64 vcc, exec, s[12:13]
	global_store_dwordx4 v1, v[1:4], s[6:7]
                                        ; implicit-def: $vgpr3_vgpr4
	s_cbranch_vccz .LBB3_15
; %bb.13:
	v_mov_b32_e32 v1, 0
	global_load_dwordx2 v[1:2], v1, s[8:9]
	s_mov_b64 s[16:17], -1
	s_and_b64 vcc, exec, s[18:19]
	s_cbranch_vccnz .LBB3_16
	s_branch .LBB3_17
.LBB3_14:
	s_mov_b64 s[18:19], -1
.LBB3_15:
	s_mov_b64 s[16:17], 0
                                        ; implicit-def: $vgpr1_vgpr2
	s_and_b64 vcc, exec, s[18:19]
	s_cbranch_vccz .LBB3_17
.LBB3_16:
	v_mov_b32_e32 v24, 0
	global_load_dwordx2 v[3:4], v24, s[8:9]
	s_mov_b32 s2, 0
	s_brev_b32 s3, 8
	s_waitcnt vmcnt(0)
	v_fma_f64 v[1:2], v[3:4], v[3:4], v[6:7]
	v_add_f64 v[1:2], v[8:9], v[1:2]
	v_cmp_gt_f64_e32 vcc, s[2:3], v[1:2]
	s_and_b64 s[2:3], vcc, exec
	s_cselect_b32 s2, 0x100, 0
	v_ldexp_f64 v[1:2], v[1:2], s2
	s_cselect_b32 s2, 0xffffff80, 0
	v_rsq_f64_e32 v[8:9], v[1:2]
	v_mul_f64 v[10:11], v[1:2], v[8:9]
	v_mul_f64 v[8:9], v[8:9], 0.5
	v_fma_f64 v[12:13], -v[8:9], v[10:11], 0.5
	v_fma_f64 v[10:11], v[10:11], v[12:13], v[10:11]
	v_fma_f64 v[8:9], v[8:9], v[12:13], v[8:9]
	v_fma_f64 v[12:13], -v[10:11], v[10:11], v[1:2]
	v_fma_f64 v[10:11], v[12:13], v[8:9], v[10:11]
	v_fma_f64 v[12:13], -v[10:11], v[10:11], v[1:2]
	v_fma_f64 v[8:9], v[12:13], v[8:9], v[10:11]
	v_mov_b32_e32 v10, 0x260
	v_cmp_class_f64_e32 vcc, v[1:2], v10
	v_ldexp_f64 v[8:9], v[8:9], s2
	v_cndmask_b32_e32 v1, v8, v1, vcc
	v_cndmask_b32_e32 v2, v9, v2, vcc
	v_cmp_le_f64_e32 vcc, 0, v[3:4]
	v_xor_b32_e32 v8, 0x80000000, v2
	v_cndmask_b32_e32 v2, v2, v8, vcc
	v_add_f64 v[8:9], v[3:4], -v[1:2]
	v_add_f64 v[3:4], v[1:2], -v[3:4]
	v_fma_f64 v[10:11], v[8:9], v[8:9], v[6:7]
	v_div_scale_f64 v[6:7], s[2:3], v[10:11], v[10:11], v[8:9]
	v_div_scale_f64 v[12:13], s[2:3], v[10:11], v[10:11], -s[10:11]
	v_rcp_f64_e32 v[14:15], v[6:7]
	v_rcp_f64_e32 v[16:17], v[12:13]
	v_fma_f64 v[18:19], -v[6:7], v[14:15], 1.0
	v_fma_f64 v[20:21], -v[12:13], v[16:17], 1.0
	v_fma_f64 v[14:15], v[14:15], v[18:19], v[14:15]
	v_fma_f64 v[16:17], v[16:17], v[20:21], v[16:17]
	v_div_scale_f64 v[20:21], vcc, v[8:9], v[10:11], v[8:9]
	v_fma_f64 v[18:19], -v[6:7], v[14:15], 1.0
	v_fma_f64 v[14:15], v[14:15], v[18:19], v[14:15]
	v_fma_f64 v[18:19], -v[12:13], v[16:17], 1.0
	v_fma_f64 v[16:17], v[16:17], v[18:19], v[16:17]
	v_mul_f64 v[18:19], v[20:21], v[14:15]
	v_fma_f64 v[6:7], -v[6:7], v[18:19], v[20:21]
	v_div_scale_f64 v[20:21], s[2:3], -s[10:11], v[10:11], -s[10:11]
	v_div_fmas_f64 v[6:7], v[6:7], v[14:15], v[18:19]
	v_div_scale_f64 v[14:15], s[16:17], v[1:2], v[1:2], v[3:4]
	s_mov_b64 vcc, s[2:3]
	s_mov_b64 s[16:17], s[12:13]
	v_mul_f64 v[18:19], v[20:21], v[16:17]
	v_div_fixup_f64 v[6:7], v[6:7], v[10:11], v[8:9]
	v_fma_f64 v[12:13], -v[12:13], v[18:19], v[20:21]
	v_rcp_f64_e32 v[20:21], v[14:15]
	v_div_fmas_f64 v[12:13], v[12:13], v[16:17], v[18:19]
	v_div_scale_f64 v[16:17], vcc, v[3:4], v[1:2], v[3:4]
	v_fma_f64 v[22:23], -v[14:15], v[20:21], 1.0
	v_div_fixup_f64 v[8:9], v[12:13], v[10:11], -s[10:11]
	v_fma_f64 v[20:21], v[20:21], v[22:23], v[20:21]
	ds_write_b128 v24, v[6:9]
	v_fma_f64 v[18:19], -v[14:15], v[20:21], 1.0
	v_fma_f64 v[18:19], v[20:21], v[18:19], v[20:21]
	v_mul_f64 v[20:21], v[16:17], v[18:19]
	v_fma_f64 v[14:15], -v[14:15], v[20:21], v[16:17]
	v_div_scale_f64 v[16:17], s[2:3], v[1:2], v[1:2], -s[10:11]
	s_mov_b64 s[2:3], s[14:15]
	v_div_fmas_f64 v[14:15], v[14:15], v[18:19], v[20:21]
	v_rcp_f64_e32 v[18:19], v[16:17]
	v_div_fixup_f64 v[10:11], v[14:15], v[1:2], v[3:4]
	v_fma_f64 v[20:21], -v[16:17], v[18:19], 1.0
	v_fma_f64 v[18:19], v[18:19], v[20:21], v[18:19]
	v_fma_f64 v[20:21], -v[16:17], v[18:19], 1.0
	v_fma_f64 v[18:19], v[18:19], v[20:21], v[18:19]
	v_div_scale_f64 v[20:21], vcc, -s[10:11], v[1:2], -s[10:11]
	v_mul_f64 v[22:23], v[20:21], v[18:19]
	v_fma_f64 v[16:17], -v[16:17], v[22:23], v[20:21]
	s_nop 1
	v_div_fmas_f64 v[16:17], v[16:17], v[18:19], v[22:23]
	v_div_fixup_f64 v[12:13], v[16:17], v[1:2], -s[10:11]
	global_store_dwordx4 v24, v[10:13], s[6:7]
.LBB3_17:
	s_andn2_b64 vcc, exec, s[16:17]
	s_cbranch_vccz .LBB3_24
; %bb.18:
	s_andn2_b64 vcc, exec, s[2:3]
	s_cbranch_vccnz .LBB3_20
.LBB3_19:
	v_mov_b32_e32 v3, 0
	v_mov_b32_e32 v4, v3
	s_waitcnt vmcnt(0)
	global_store_dwordx4 v3, v[1:4], s[8:9]
.LBB3_20:
	s_or_b64 exec, exec, s[4:5]
	s_waitcnt vmcnt(0) lgkmcnt(0)
	s_barrier
	s_and_saveexec_b64 s[2:3], s[0:1]
	s_cbranch_execz .LBB3_23
; %bb.21:
	v_mov_b32_e32 v1, 0
	ds_read_b128 v[1:4], v1
	s_lshl_b32 s2, s26, 9
	s_mov_b64 s[0:1], 0
	v_mov_b32_e32 v7, s22
.LBB3_22:                               ; =>This Inner Loop Header: Depth=1
	v_ashrrev_i32_e32 v6, 31, v5
	v_lshlrev_b64 v[8:9], 4, v[5:6]
	v_add_u32_e32 v0, 0x200, v0
	v_add_co_u32_e32 v14, vcc, s20, v8
	v_addc_co_u32_e32 v15, vcc, v7, v9, vcc
	global_load_dwordx4 v[8:11], v[14:15], off
	v_cmp_le_i32_e32 vcc, s21, v0
	s_or_b64 s[0:1], vcc, s[0:1]
	v_add_u32_e32 v5, s2, v5
	s_waitcnt vmcnt(0) lgkmcnt(0)
	v_mul_f64 v[12:13], v[3:4], v[10:11]
	v_mul_f64 v[16:17], v[1:2], v[10:11]
	v_fma_f64 v[10:11], v[1:2], v[8:9], -v[12:13]
	v_fma_f64 v[12:13], v[3:4], v[8:9], v[16:17]
	global_store_dwordx4 v[14:15], v[10:13], off
	s_andn2_b64 exec, exec, s[0:1]
	s_cbranch_execnz .LBB3_22
.LBB3_23:
	s_endpgm
.LBB3_24:
	v_mov_b32_e32 v3, 0
	s_waitcnt vmcnt(0)
	global_store_dwordx2 v3, v[1:2], s[24:25]
	v_mov_b32_e32 v1, 0
	v_mov_b32_e32 v2, 0x3ff00000
	s_branch .LBB3_19
	.section	.rodata,"a",@progbits
	.p2align	6, 0x0
	.amdhsa_kernel _ZN9rocsolver6v33100L18larfg_kernel_smallILi512E19rocblas_complex_numIdEidPS3_EEvT1_T3_llPT2_llS6_lS5_lPT0_l
		.amdhsa_group_segment_fixed_size 128
		.amdhsa_private_segment_fixed_size 0
		.amdhsa_kernarg_size 104
		.amdhsa_user_sgpr_count 6
		.amdhsa_user_sgpr_private_segment_buffer 1
		.amdhsa_user_sgpr_dispatch_ptr 0
		.amdhsa_user_sgpr_queue_ptr 0
		.amdhsa_user_sgpr_kernarg_segment_ptr 1
		.amdhsa_user_sgpr_dispatch_id 0
		.amdhsa_user_sgpr_flat_scratch_init 0
		.amdhsa_user_sgpr_private_segment_size 0
		.amdhsa_uses_dynamic_stack 0
		.amdhsa_system_sgpr_private_segment_wavefront_offset 0
		.amdhsa_system_sgpr_workgroup_id_x 1
		.amdhsa_system_sgpr_workgroup_id_y 0
		.amdhsa_system_sgpr_workgroup_id_z 1
		.amdhsa_system_sgpr_workgroup_info 0
		.amdhsa_system_vgpr_workitem_id 0
		.amdhsa_next_free_vgpr 25
		.amdhsa_next_free_sgpr 27
		.amdhsa_reserve_vcc 1
		.amdhsa_reserve_flat_scratch 0
		.amdhsa_float_round_mode_32 0
		.amdhsa_float_round_mode_16_64 0
		.amdhsa_float_denorm_mode_32 3
		.amdhsa_float_denorm_mode_16_64 3
		.amdhsa_dx10_clamp 1
		.amdhsa_ieee_mode 1
		.amdhsa_fp16_overflow 0
		.amdhsa_exception_fp_ieee_invalid_op 0
		.amdhsa_exception_fp_denorm_src 0
		.amdhsa_exception_fp_ieee_div_zero 0
		.amdhsa_exception_fp_ieee_overflow 0
		.amdhsa_exception_fp_ieee_underflow 0
		.amdhsa_exception_fp_ieee_inexact 0
		.amdhsa_exception_int_div_zero 0
	.end_amdhsa_kernel
	.section	.text._ZN9rocsolver6v33100L18larfg_kernel_smallILi512E19rocblas_complex_numIdEidPS3_EEvT1_T3_llPT2_llS6_lS5_lPT0_l,"axG",@progbits,_ZN9rocsolver6v33100L18larfg_kernel_smallILi512E19rocblas_complex_numIdEidPS3_EEvT1_T3_llPT2_llS6_lS5_lPT0_l,comdat
.Lfunc_end3:
	.size	_ZN9rocsolver6v33100L18larfg_kernel_smallILi512E19rocblas_complex_numIdEidPS3_EEvT1_T3_llPT2_llS6_lS5_lPT0_l, .Lfunc_end3-_ZN9rocsolver6v33100L18larfg_kernel_smallILi512E19rocblas_complex_numIdEidPS3_EEvT1_T3_llPT2_llS6_lS5_lPT0_l
                                        ; -- End function
	.set _ZN9rocsolver6v33100L18larfg_kernel_smallILi512E19rocblas_complex_numIdEidPS3_EEvT1_T3_llPT2_llS6_lS5_lPT0_l.num_vgpr, 25
	.set _ZN9rocsolver6v33100L18larfg_kernel_smallILi512E19rocblas_complex_numIdEidPS3_EEvT1_T3_llPT2_llS6_lS5_lPT0_l.num_agpr, 0
	.set _ZN9rocsolver6v33100L18larfg_kernel_smallILi512E19rocblas_complex_numIdEidPS3_EEvT1_T3_llPT2_llS6_lS5_lPT0_l.numbered_sgpr, 27
	.set _ZN9rocsolver6v33100L18larfg_kernel_smallILi512E19rocblas_complex_numIdEidPS3_EEvT1_T3_llPT2_llS6_lS5_lPT0_l.num_named_barrier, 0
	.set _ZN9rocsolver6v33100L18larfg_kernel_smallILi512E19rocblas_complex_numIdEidPS3_EEvT1_T3_llPT2_llS6_lS5_lPT0_l.private_seg_size, 0
	.set _ZN9rocsolver6v33100L18larfg_kernel_smallILi512E19rocblas_complex_numIdEidPS3_EEvT1_T3_llPT2_llS6_lS5_lPT0_l.uses_vcc, 1
	.set _ZN9rocsolver6v33100L18larfg_kernel_smallILi512E19rocblas_complex_numIdEidPS3_EEvT1_T3_llPT2_llS6_lS5_lPT0_l.uses_flat_scratch, 0
	.set _ZN9rocsolver6v33100L18larfg_kernel_smallILi512E19rocblas_complex_numIdEidPS3_EEvT1_T3_llPT2_llS6_lS5_lPT0_l.has_dyn_sized_stack, 0
	.set _ZN9rocsolver6v33100L18larfg_kernel_smallILi512E19rocblas_complex_numIdEidPS3_EEvT1_T3_llPT2_llS6_lS5_lPT0_l.has_recursion, 0
	.set _ZN9rocsolver6v33100L18larfg_kernel_smallILi512E19rocblas_complex_numIdEidPS3_EEvT1_T3_llPT2_llS6_lS5_lPT0_l.has_indirect_call, 0
	.section	.AMDGPU.csdata,"",@progbits
; Kernel info:
; codeLenInByte = 2152
; TotalNumSgprs: 31
; NumVgprs: 25
; ScratchSize: 0
; MemoryBound: 0
; FloatMode: 240
; IeeeMode: 1
; LDSByteSize: 128 bytes/workgroup (compile time only)
; SGPRBlocks: 3
; VGPRBlocks: 6
; NumSGPRsForWavesPerEU: 31
; NumVGPRsForWavesPerEU: 25
; Occupancy: 9
; WaveLimiterHint : 1
; COMPUTE_PGM_RSRC2:SCRATCH_EN: 0
; COMPUTE_PGM_RSRC2:USER_SGPR: 6
; COMPUTE_PGM_RSRC2:TRAP_HANDLER: 0
; COMPUTE_PGM_RSRC2:TGID_X_EN: 1
; COMPUTE_PGM_RSRC2:TGID_Y_EN: 0
; COMPUTE_PGM_RSRC2:TGID_Z_EN: 1
; COMPUTE_PGM_RSRC2:TIDIG_COMP_CNT: 0
	.section	.text._ZN9rocsolver6v33100L18larfg_kernel_smallILi1024E19rocblas_complex_numIdEidPS3_EEvT1_T3_llPT2_llS6_lS5_lPT0_l,"axG",@progbits,_ZN9rocsolver6v33100L18larfg_kernel_smallILi1024E19rocblas_complex_numIdEidPS3_EEvT1_T3_llPT2_llS6_lS5_lPT0_l,comdat
	.globl	_ZN9rocsolver6v33100L18larfg_kernel_smallILi1024E19rocblas_complex_numIdEidPS3_EEvT1_T3_llPT2_llS6_lS5_lPT0_l ; -- Begin function _ZN9rocsolver6v33100L18larfg_kernel_smallILi1024E19rocblas_complex_numIdEidPS3_EEvT1_T3_llPT2_llS6_lS5_lPT0_l
	.p2align	8
	.type	_ZN9rocsolver6v33100L18larfg_kernel_smallILi1024E19rocblas_complex_numIdEidPS3_EEvT1_T3_llPT2_llS6_lS5_lPT0_l,@function
_ZN9rocsolver6v33100L18larfg_kernel_smallILi1024E19rocblas_complex_numIdEidPS3_EEvT1_T3_llPT2_llS6_lS5_lPT0_l: ; @_ZN9rocsolver6v33100L18larfg_kernel_smallILi1024E19rocblas_complex_numIdEidPS3_EEvT1_T3_llPT2_llS6_lS5_lPT0_l
; %bb.0:
	s_load_dwordx16 s[8:23], s[4:5], 0x8
	s_ashr_i32 s6, s7, 31
	s_mov_b64 s[24:25], 0
	s_waitcnt lgkmcnt(0)
	s_cmp_eq_u64 s[14:15], 0
	s_cbranch_scc1 .LBB4_2
; %bb.1:
	s_mul_i32 s0, s18, s6
	s_mul_hi_u32 s1, s18, s7
	s_add_i32 s0, s1, s0
	s_mul_i32 s1, s19, s7
	s_add_i32 s1, s0, s1
	s_mul_i32 s0, s18, s7
	s_lshl_b64 s[0:1], s[0:1], 3
	s_add_u32 s2, s14, s0
	s_addc_u32 s3, s15, s1
	s_lshl_b64 s[0:1], s[16:17], 3
	s_add_u32 s24, s2, s0
	s_addc_u32 s25, s3, s1
.LBB4_2:
	s_load_dwordx4 s[0:3], s[4:5], 0x50
	s_load_dword s16, s[4:5], 0x0
	s_load_dword s26, s[4:5], 0x48
	s_load_dwordx2 s[14:15], s[4:5], 0x60
	v_mov_b32_e32 v1, 0
	s_waitcnt lgkmcnt(0)
	s_mul_i32 s4, s0, s6
	s_mul_hi_u32 s5, s0, s7
	s_add_i32 s4, s5, s4
	s_mul_i32 s1, s1, s7
	s_add_i32 s1, s4, s1
	s_mul_i32 s0, s0, s7
	s_lshl_b64 s[0:1], s[0:1], 4
	s_add_u32 s4, s20, s0
	s_addc_u32 s5, s21, s1
	s_lshl_b64 s[0:1], s[22:23], 4
	v_mul_lo_u32 v5, v0, s26
	s_add_u32 s20, s4, s0
	s_addc_u32 s22, s5, s1
	s_add_i32 s21, s16, -1
	v_mov_b32_e32 v3, 0
	v_mov_b32_e32 v2, 0
	;; [unrolled: 1-line block ×3, first 2 shown]
	v_cmp_gt_i32_e64 s[0:1], s21, v0
	s_and_saveexec_b64 s[4:5], s[0:1]
	s_cbranch_execz .LBB4_6
; %bb.3:
	v_mul_lo_u32 v6, v0, s26
	v_mov_b32_e32 v1, 0
	v_mov_b32_e32 v3, 0
	s_lshl_b32 s18, s26, 10
	v_mov_b32_e32 v2, 0
	s_mov_b64 s[16:17], 0
	v_mov_b32_e32 v8, s22
	v_mov_b32_e32 v4, 0
	;; [unrolled: 1-line block ×3, first 2 shown]
.LBB4_4:                                ; =>This Inner Loop Header: Depth=1
	v_ashrrev_i32_e32 v7, 31, v6
	v_lshlrev_b64 v[10:11], 4, v[6:7]
	v_add_u32_e32 v9, 0x400, v9
	v_add_co_u32_e32 v10, vcc, s20, v10
	v_addc_co_u32_e32 v11, vcc, v8, v11, vcc
	global_load_dwordx4 v[10:13], v[10:11], off
	v_cmp_le_i32_e32 vcc, s21, v9
	s_or_b64 s[16:17], vcc, s[16:17]
	v_add_u32_e32 v6, s18, v6
	s_waitcnt vmcnt(0)
	v_mul_f64 v[14:15], v[12:13], v[12:13]
	v_mul_f64 v[16:17], v[10:11], v[12:13]
	v_fma_f64 v[14:15], v[10:11], v[10:11], v[14:15]
	v_fma_f64 v[10:11], v[10:11], v[12:13], -v[16:17]
	v_add_f64 v[3:4], v[3:4], v[14:15]
	v_add_f64 v[1:2], v[1:2], v[10:11]
	s_andn2_b64 exec, exec, s[16:17]
	s_cbranch_execnz .LBB4_4
; %bb.5:
	s_or_b64 exec, exec, s[16:17]
.LBB4_6:
	s_or_b64 exec, exec, s[4:5]
	v_mbcnt_lo_u32_b32 v6, -1, 0
	v_mbcnt_hi_u32_b32 v10, -1, v6
	v_and_b32_e32 v11, 63, v10
	v_cmp_ne_u32_e32 vcc, 63, v11
	v_addc_co_u32_e32 v6, vcc, 0, v10, vcc
	v_lshlrev_b32_e32 v9, 2, v6
	ds_bpermute_b32 v6, v9, v3
	ds_bpermute_b32 v7, v9, v4
	;; [unrolled: 1-line block ×4, first 2 shown]
	v_cmp_gt_u32_e32 vcc, 62, v11
	s_waitcnt lgkmcnt(2)
	v_add_f64 v[3:4], v[3:4], v[6:7]
	v_cndmask_b32_e64 v6, 0, 2, vcc
	s_waitcnt lgkmcnt(0)
	v_add_f64 v[1:2], v[1:2], v[8:9]
	v_add_lshl_u32 v9, v6, v10, 2
	v_cmp_gt_u32_e32 vcc, 60, v11
	ds_bpermute_b32 v6, v9, v3
	ds_bpermute_b32 v7, v9, v4
	ds_bpermute_b32 v8, v9, v1
	ds_bpermute_b32 v9, v9, v2
	s_waitcnt lgkmcnt(2)
	v_add_f64 v[3:4], v[3:4], v[6:7]
	v_cndmask_b32_e64 v6, 0, 4, vcc
	s_waitcnt lgkmcnt(0)
	v_add_f64 v[1:2], v[1:2], v[8:9]
	v_add_lshl_u32 v9, v6, v10, 2
	v_cmp_gt_u32_e32 vcc, 56, v11
	ds_bpermute_b32 v6, v9, v3
	ds_bpermute_b32 v7, v9, v4
	ds_bpermute_b32 v8, v9, v1
	ds_bpermute_b32 v9, v9, v2
	;; [unrolled: 11-line block ×3, first 2 shown]
	s_waitcnt lgkmcnt(2)
	v_add_f64 v[3:4], v[3:4], v[6:7]
	v_cndmask_b32_e64 v6, 0, 16, vcc
	s_waitcnt lgkmcnt(0)
	v_add_f64 v[1:2], v[1:2], v[8:9]
	v_add_lshl_u32 v9, v6, v10, 2
	ds_bpermute_b32 v6, v9, v3
	ds_bpermute_b32 v7, v9, v4
	;; [unrolled: 1-line block ×4, first 2 shown]
	s_waitcnt lgkmcnt(2)
	v_add_f64 v[3:4], v[3:4], v[6:7]
	s_waitcnt lgkmcnt(0)
	v_add_f64 v[6:7], v[1:2], v[8:9]
	v_mov_b32_e32 v1, 0x80
	v_lshl_or_b32 v9, v10, 2, v1
	ds_bpermute_b32 v1, v9, v3
	ds_bpermute_b32 v2, v9, v4
	;; [unrolled: 1-line block ×4, first 2 shown]
	s_waitcnt lgkmcnt(2)
	v_add_f64 v[1:2], v[3:4], v[1:2]
	s_waitcnt lgkmcnt(0)
	v_add_f64 v[3:4], v[6:7], v[8:9]
	v_and_b32_e32 v6, 63, v0
	v_cmp_eq_u32_e32 vcc, 0, v6
	s_and_saveexec_b64 s[4:5], vcc
; %bb.7:
	v_lshrrev_b32_e32 v6, 2, v0
	ds_write_b128 v6, v[1:4]
; %bb.8:
	s_or_b64 exec, exec, s[4:5]
	v_cmp_eq_u32_e32 vcc, 0, v0
	s_waitcnt lgkmcnt(0)
	s_barrier
	s_and_saveexec_b64 s[4:5], vcc
	s_cbranch_execz .LBB4_10
; %bb.9:
	v_mov_b32_e32 v14, 0
	ds_read_b128 v[6:9], v14 offset:16
	ds_read_b128 v[10:13], v14 offset:32
	s_waitcnt lgkmcnt(1)
	v_add_f64 v[1:2], v[1:2], v[6:7]
	v_add_f64 v[3:4], v[3:4], v[8:9]
	s_waitcnt lgkmcnt(0)
	v_add_f64 v[10:11], v[1:2], v[10:11]
	v_add_f64 v[12:13], v[3:4], v[12:13]
	ds_read_b128 v[1:4], v14 offset:48
	ds_read_b128 v[6:9], v14 offset:64
	s_waitcnt lgkmcnt(1)
	v_add_f64 v[1:2], v[10:11], v[1:2]
	v_add_f64 v[3:4], v[12:13], v[3:4]
	s_waitcnt lgkmcnt(0)
	v_add_f64 v[10:11], v[1:2], v[6:7]
	v_add_f64 v[12:13], v[3:4], v[8:9]
	;; [unrolled: 8-line block ×7, first 2 shown]
	ds_read_b128 v[1:4], v14 offset:240
	s_waitcnt lgkmcnt(0)
	v_add_f64 v[1:2], v[6:7], v[1:2]
	v_add_f64 v[3:4], v[8:9], v[3:4]
	ds_write_b128 v14, v[1:4]
.LBB4_10:
	s_or_b64 exec, exec, s[4:5]
	s_waitcnt lgkmcnt(0)
	s_barrier
	s_and_saveexec_b64 s[4:5], vcc
	s_cbranch_execz .LBB4_20
; %bb.11:
	s_mul_i32 s16, s12, s6
	s_mul_hi_u32 s17, s12, s7
	s_add_i32 s16, s17, s16
	s_mul_i32 s13, s13, s7
	s_add_i32 s13, s16, s13
	s_mul_i32 s12, s12, s7
	s_lshl_b64 s[12:13], s[12:13], 4
	s_add_u32 s12, s8, s12
	s_addc_u32 s13, s9, s13
	s_lshl_b64 s[8:9], s[10:11], 4
	s_add_u32 s8, s12, s8
	s_addc_u32 s9, s13, s9
	v_mov_b32_e32 v1, 0
	s_load_dwordx2 s[10:11], s[8:9], 0x8
	ds_read_b64 v[8:9], v1
	s_mul_i32 s6, s14, s6
	s_mul_hi_u32 s12, s14, s7
	s_add_i32 s6, s12, s6
	s_waitcnt lgkmcnt(0)
	v_mul_f64 v[6:7], s[10:11], s[10:11]
	v_max_f64 v[2:3], v[8:9], v[8:9]
	s_mul_i32 s12, s15, s7
	s_add_i32 s13, s6, s12
	s_mul_i32 s12, s14, s7
	s_lshl_b64 s[6:7], s[12:13], 4
	s_add_u32 s6, s2, s6
	s_addc_u32 s7, s3, s7
	s_cmp_eq_u64 s[24:25], 0
	v_max_f64 v[2:3], v[2:3], v[6:7]
	s_cselect_b64 s[14:15], -1, 0
	s_cmp_lg_u64 s[24:25], 0
	s_mov_b64 s[2:3], 0
	s_cselect_b64 s[12:13], -1, 0
	v_cmp_nlt_f64_e32 vcc, 0, v[2:3]
	s_cbranch_vccz .LBB4_14
; %bb.12:
	v_mov_b32_e32 v2, 0x3ff00000
	v_mov_b32_e32 v3, v1
	;; [unrolled: 1-line block ×3, first 2 shown]
	ds_write_b128 v1, v[1:4]
	v_mov_b32_e32 v2, v1
	s_mov_b64 s[18:19], 0
	s_and_b64 vcc, exec, s[12:13]
	global_store_dwordx4 v1, v[1:4], s[6:7]
                                        ; implicit-def: $vgpr3_vgpr4
	s_cbranch_vccz .LBB4_15
; %bb.13:
	v_mov_b32_e32 v1, 0
	global_load_dwordx2 v[1:2], v1, s[8:9]
	s_mov_b64 s[16:17], -1
	s_and_b64 vcc, exec, s[18:19]
	s_cbranch_vccnz .LBB4_16
	s_branch .LBB4_17
.LBB4_14:
	s_mov_b64 s[18:19], -1
.LBB4_15:
	s_mov_b64 s[16:17], 0
                                        ; implicit-def: $vgpr1_vgpr2
	s_and_b64 vcc, exec, s[18:19]
	s_cbranch_vccz .LBB4_17
.LBB4_16:
	v_mov_b32_e32 v3, 0
	global_load_dwordx2 v[10:11], v3, s[8:9]
	s_mov_b32 s2, 0
	s_brev_b32 s3, 8
	v_mov_b32_e32 v4, 0x260
	s_waitcnt vmcnt(0)
	v_fma_f64 v[1:2], v[10:11], v[10:11], v[6:7]
	v_add_f64 v[1:2], v[8:9], v[1:2]
	v_cmp_gt_f64_e32 vcc, s[2:3], v[1:2]
	s_and_b64 s[2:3], vcc, exec
	s_cselect_b32 s2, 0x100, 0
	v_ldexp_f64 v[1:2], v[1:2], s2
	s_cselect_b32 s2, 0xffffff80, 0
	v_rsq_f64_e32 v[8:9], v[1:2]
	v_cmp_class_f64_e32 vcc, v[1:2], v4
	v_mul_f64 v[12:13], v[1:2], v[8:9]
	v_mul_f64 v[8:9], v[8:9], 0.5
	v_fma_f64 v[14:15], -v[8:9], v[12:13], 0.5
	v_fma_f64 v[12:13], v[12:13], v[14:15], v[12:13]
	v_fma_f64 v[8:9], v[8:9], v[14:15], v[8:9]
	v_fma_f64 v[14:15], -v[12:13], v[12:13], v[1:2]
	v_fma_f64 v[12:13], v[14:15], v[8:9], v[12:13]
	v_fma_f64 v[14:15], -v[12:13], v[12:13], v[1:2]
	v_fma_f64 v[8:9], v[14:15], v[8:9], v[12:13]
	v_ldexp_f64 v[8:9], v[8:9], s2
	v_cndmask_b32_e32 v1, v8, v1, vcc
	v_cndmask_b32_e32 v2, v9, v2, vcc
	v_cmp_le_f64_e32 vcc, 0, v[10:11]
	v_xor_b32_e32 v4, 0x80000000, v2
	v_cndmask_b32_e32 v2, v2, v4, vcc
	v_add_f64 v[8:9], v[10:11], -v[1:2]
	v_add_f64 v[10:11], v[1:2], -v[10:11]
	v_fma_f64 v[12:13], v[8:9], v[8:9], v[6:7]
	v_div_scale_f64 v[6:7], s[2:3], v[12:13], v[12:13], v[8:9]
	v_div_scale_f64 v[14:15], s[2:3], v[12:13], v[12:13], -s[10:11]
	v_rcp_f64_e32 v[16:17], v[6:7]
	v_rcp_f64_e32 v[18:19], v[14:15]
	v_fma_f64 v[20:21], -v[6:7], v[16:17], 1.0
	v_fma_f64 v[22:23], -v[14:15], v[18:19], 1.0
	v_fma_f64 v[16:17], v[16:17], v[20:21], v[16:17]
	v_fma_f64 v[18:19], v[18:19], v[22:23], v[18:19]
	v_div_scale_f64 v[22:23], vcc, v[8:9], v[12:13], v[8:9]
	v_fma_f64 v[20:21], -v[6:7], v[16:17], 1.0
	v_fma_f64 v[16:17], v[16:17], v[20:21], v[16:17]
	v_fma_f64 v[20:21], -v[14:15], v[18:19], 1.0
	v_fma_f64 v[18:19], v[18:19], v[20:21], v[18:19]
	v_mul_f64 v[20:21], v[22:23], v[16:17]
	v_fma_f64 v[6:7], -v[6:7], v[20:21], v[22:23]
	v_div_scale_f64 v[22:23], s[2:3], -s[10:11], v[12:13], -s[10:11]
	v_div_fmas_f64 v[6:7], v[6:7], v[16:17], v[20:21]
	v_div_scale_f64 v[16:17], s[16:17], v[1:2], v[1:2], v[10:11]
	s_mov_b64 vcc, s[2:3]
	s_mov_b64 s[16:17], s[12:13]
	v_mul_f64 v[20:21], v[22:23], v[18:19]
	v_div_fixup_f64 v[6:7], v[6:7], v[12:13], v[8:9]
	v_fma_f64 v[14:15], -v[14:15], v[20:21], v[22:23]
	v_rcp_f64_e32 v[22:23], v[16:17]
	v_div_fmas_f64 v[14:15], v[14:15], v[18:19], v[20:21]
	v_div_scale_f64 v[18:19], vcc, v[10:11], v[1:2], v[10:11]
	v_fma_f64 v[24:25], -v[16:17], v[22:23], 1.0
	v_div_fixup_f64 v[8:9], v[14:15], v[12:13], -s[10:11]
	v_fma_f64 v[22:23], v[22:23], v[24:25], v[22:23]
	ds_write_b128 v3, v[6:9]
	v_fma_f64 v[20:21], -v[16:17], v[22:23], 1.0
	v_fma_f64 v[20:21], v[22:23], v[20:21], v[22:23]
	v_mul_f64 v[22:23], v[18:19], v[20:21]
	v_fma_f64 v[16:17], -v[16:17], v[22:23], v[18:19]
	v_div_scale_f64 v[18:19], s[2:3], v[1:2], v[1:2], -s[10:11]
	s_mov_b64 s[2:3], s[14:15]
	v_div_fmas_f64 v[16:17], v[16:17], v[20:21], v[22:23]
	v_rcp_f64_e32 v[20:21], v[18:19]
	v_div_fixup_f64 v[10:11], v[16:17], v[1:2], v[10:11]
	v_fma_f64 v[22:23], -v[18:19], v[20:21], 1.0
	v_fma_f64 v[20:21], v[20:21], v[22:23], v[20:21]
	v_fma_f64 v[22:23], -v[18:19], v[20:21], 1.0
	v_fma_f64 v[20:21], v[20:21], v[22:23], v[20:21]
	v_div_scale_f64 v[22:23], vcc, -s[10:11], v[1:2], -s[10:11]
	v_mul_f64 v[24:25], v[22:23], v[20:21]
	v_fma_f64 v[18:19], -v[18:19], v[24:25], v[22:23]
	s_nop 1
	v_div_fmas_f64 v[18:19], v[18:19], v[20:21], v[24:25]
	v_div_fixup_f64 v[12:13], v[18:19], v[1:2], -s[10:11]
	global_store_dwordx4 v3, v[10:13], s[6:7]
.LBB4_17:
	s_andn2_b64 vcc, exec, s[16:17]
	s_cbranch_vccz .LBB4_24
; %bb.18:
	s_andn2_b64 vcc, exec, s[2:3]
	s_cbranch_vccnz .LBB4_20
.LBB4_19:
	v_mov_b32_e32 v3, 0
	v_mov_b32_e32 v4, v3
	s_waitcnt vmcnt(0)
	global_store_dwordx4 v3, v[1:4], s[8:9]
.LBB4_20:
	s_or_b64 exec, exec, s[4:5]
	s_waitcnt vmcnt(0) lgkmcnt(0)
	s_barrier
	s_and_saveexec_b64 s[2:3], s[0:1]
	s_cbranch_execz .LBB4_23
; %bb.21:
	v_mov_b32_e32 v1, 0
	ds_read_b128 v[1:4], v1
	s_lshl_b32 s2, s26, 10
	s_mov_b64 s[0:1], 0
	v_mov_b32_e32 v7, s22
.LBB4_22:                               ; =>This Inner Loop Header: Depth=1
	v_ashrrev_i32_e32 v6, 31, v5
	v_lshlrev_b64 v[8:9], 4, v[5:6]
	v_add_u32_e32 v0, 0x400, v0
	v_add_co_u32_e32 v14, vcc, s20, v8
	v_addc_co_u32_e32 v15, vcc, v7, v9, vcc
	global_load_dwordx4 v[8:11], v[14:15], off
	v_cmp_le_i32_e32 vcc, s21, v0
	s_or_b64 s[0:1], vcc, s[0:1]
	v_add_u32_e32 v5, s2, v5
	s_waitcnt vmcnt(0) lgkmcnt(0)
	v_mul_f64 v[12:13], v[3:4], v[10:11]
	v_mul_f64 v[16:17], v[1:2], v[10:11]
	v_fma_f64 v[10:11], v[1:2], v[8:9], -v[12:13]
	v_fma_f64 v[12:13], v[3:4], v[8:9], v[16:17]
	global_store_dwordx4 v[14:15], v[10:13], off
	s_andn2_b64 exec, exec, s[0:1]
	s_cbranch_execnz .LBB4_22
.LBB4_23:
	s_endpgm
.LBB4_24:
	v_mov_b32_e32 v3, 0
	s_waitcnt vmcnt(0)
	global_store_dwordx2 v3, v[1:2], s[24:25]
	v_mov_b32_e32 v1, 0
	v_mov_b32_e32 v2, 0x3ff00000
	s_branch .LBB4_19
	.section	.rodata,"a",@progbits
	.p2align	6, 0x0
	.amdhsa_kernel _ZN9rocsolver6v33100L18larfg_kernel_smallILi1024E19rocblas_complex_numIdEidPS3_EEvT1_T3_llPT2_llS6_lS5_lPT0_l
		.amdhsa_group_segment_fixed_size 256
		.amdhsa_private_segment_fixed_size 0
		.amdhsa_kernarg_size 104
		.amdhsa_user_sgpr_count 6
		.amdhsa_user_sgpr_private_segment_buffer 1
		.amdhsa_user_sgpr_dispatch_ptr 0
		.amdhsa_user_sgpr_queue_ptr 0
		.amdhsa_user_sgpr_kernarg_segment_ptr 1
		.amdhsa_user_sgpr_dispatch_id 0
		.amdhsa_user_sgpr_flat_scratch_init 0
		.amdhsa_user_sgpr_private_segment_size 0
		.amdhsa_uses_dynamic_stack 0
		.amdhsa_system_sgpr_private_segment_wavefront_offset 0
		.amdhsa_system_sgpr_workgroup_id_x 1
		.amdhsa_system_sgpr_workgroup_id_y 0
		.amdhsa_system_sgpr_workgroup_id_z 1
		.amdhsa_system_sgpr_workgroup_info 0
		.amdhsa_system_vgpr_workitem_id 0
		.amdhsa_next_free_vgpr 26
		.amdhsa_next_free_sgpr 27
		.amdhsa_reserve_vcc 1
		.amdhsa_reserve_flat_scratch 0
		.amdhsa_float_round_mode_32 0
		.amdhsa_float_round_mode_16_64 0
		.amdhsa_float_denorm_mode_32 3
		.amdhsa_float_denorm_mode_16_64 3
		.amdhsa_dx10_clamp 1
		.amdhsa_ieee_mode 1
		.amdhsa_fp16_overflow 0
		.amdhsa_exception_fp_ieee_invalid_op 0
		.amdhsa_exception_fp_denorm_src 0
		.amdhsa_exception_fp_ieee_div_zero 0
		.amdhsa_exception_fp_ieee_overflow 0
		.amdhsa_exception_fp_ieee_underflow 0
		.amdhsa_exception_fp_ieee_inexact 0
		.amdhsa_exception_int_div_zero 0
	.end_amdhsa_kernel
	.section	.text._ZN9rocsolver6v33100L18larfg_kernel_smallILi1024E19rocblas_complex_numIdEidPS3_EEvT1_T3_llPT2_llS6_lS5_lPT0_l,"axG",@progbits,_ZN9rocsolver6v33100L18larfg_kernel_smallILi1024E19rocblas_complex_numIdEidPS3_EEvT1_T3_llPT2_llS6_lS5_lPT0_l,comdat
.Lfunc_end4:
	.size	_ZN9rocsolver6v33100L18larfg_kernel_smallILi1024E19rocblas_complex_numIdEidPS3_EEvT1_T3_llPT2_llS6_lS5_lPT0_l, .Lfunc_end4-_ZN9rocsolver6v33100L18larfg_kernel_smallILi1024E19rocblas_complex_numIdEidPS3_EEvT1_T3_llPT2_llS6_lS5_lPT0_l
                                        ; -- End function
	.set _ZN9rocsolver6v33100L18larfg_kernel_smallILi1024E19rocblas_complex_numIdEidPS3_EEvT1_T3_llPT2_llS6_lS5_lPT0_l.num_vgpr, 26
	.set _ZN9rocsolver6v33100L18larfg_kernel_smallILi1024E19rocblas_complex_numIdEidPS3_EEvT1_T3_llPT2_llS6_lS5_lPT0_l.num_agpr, 0
	.set _ZN9rocsolver6v33100L18larfg_kernel_smallILi1024E19rocblas_complex_numIdEidPS3_EEvT1_T3_llPT2_llS6_lS5_lPT0_l.numbered_sgpr, 27
	.set _ZN9rocsolver6v33100L18larfg_kernel_smallILi1024E19rocblas_complex_numIdEidPS3_EEvT1_T3_llPT2_llS6_lS5_lPT0_l.num_named_barrier, 0
	.set _ZN9rocsolver6v33100L18larfg_kernel_smallILi1024E19rocblas_complex_numIdEidPS3_EEvT1_T3_llPT2_llS6_lS5_lPT0_l.private_seg_size, 0
	.set _ZN9rocsolver6v33100L18larfg_kernel_smallILi1024E19rocblas_complex_numIdEidPS3_EEvT1_T3_llPT2_llS6_lS5_lPT0_l.uses_vcc, 1
	.set _ZN9rocsolver6v33100L18larfg_kernel_smallILi1024E19rocblas_complex_numIdEidPS3_EEvT1_T3_llPT2_llS6_lS5_lPT0_l.uses_flat_scratch, 0
	.set _ZN9rocsolver6v33100L18larfg_kernel_smallILi1024E19rocblas_complex_numIdEidPS3_EEvT1_T3_llPT2_llS6_lS5_lPT0_l.has_dyn_sized_stack, 0
	.set _ZN9rocsolver6v33100L18larfg_kernel_smallILi1024E19rocblas_complex_numIdEidPS3_EEvT1_T3_llPT2_llS6_lS5_lPT0_l.has_recursion, 0
	.set _ZN9rocsolver6v33100L18larfg_kernel_smallILi1024E19rocblas_complex_numIdEidPS3_EEvT1_T3_llPT2_llS6_lS5_lPT0_l.has_indirect_call, 0
	.section	.AMDGPU.csdata,"",@progbits
; Kernel info:
; codeLenInByte = 2376
; TotalNumSgprs: 31
; NumVgprs: 26
; ScratchSize: 0
; MemoryBound: 0
; FloatMode: 240
; IeeeMode: 1
; LDSByteSize: 256 bytes/workgroup (compile time only)
; SGPRBlocks: 3
; VGPRBlocks: 6
; NumSGPRsForWavesPerEU: 31
; NumVGPRsForWavesPerEU: 26
; Occupancy: 9
; WaveLimiterHint : 1
; COMPUTE_PGM_RSRC2:SCRATCH_EN: 0
; COMPUTE_PGM_RSRC2:USER_SGPR: 6
; COMPUTE_PGM_RSRC2:TRAP_HANDLER: 0
; COMPUTE_PGM_RSRC2:TGID_X_EN: 1
; COMPUTE_PGM_RSRC2:TGID_Y_EN: 0
; COMPUTE_PGM_RSRC2:TGID_Z_EN: 1
; COMPUTE_PGM_RSRC2:TIDIG_COMP_CNT: 0
	.section	.text._ZN9rocsolver6v33100L18larfg_kernel_smallILi64E19rocblas_complex_numIdEidPKPS3_EEvT1_T3_llPT2_llS8_lS7_lPT0_l,"axG",@progbits,_ZN9rocsolver6v33100L18larfg_kernel_smallILi64E19rocblas_complex_numIdEidPKPS3_EEvT1_T3_llPT2_llS8_lS7_lPT0_l,comdat
	.globl	_ZN9rocsolver6v33100L18larfg_kernel_smallILi64E19rocblas_complex_numIdEidPKPS3_EEvT1_T3_llPT2_llS8_lS7_lPT0_l ; -- Begin function _ZN9rocsolver6v33100L18larfg_kernel_smallILi64E19rocblas_complex_numIdEidPKPS3_EEvT1_T3_llPT2_llS8_lS7_lPT0_l
	.p2align	8
	.type	_ZN9rocsolver6v33100L18larfg_kernel_smallILi64E19rocblas_complex_numIdEidPKPS3_EEvT1_T3_llPT2_llS8_lS7_lPT0_l,@function
_ZN9rocsolver6v33100L18larfg_kernel_smallILi64E19rocblas_complex_numIdEidPKPS3_EEvT1_T3_llPT2_llS8_lS7_lPT0_l: ; @_ZN9rocsolver6v33100L18larfg_kernel_smallILi64E19rocblas_complex_numIdEidPKPS3_EEvT1_T3_llPT2_llS8_lS7_lPT0_l
; %bb.0:
	s_load_dwordx4 s[0:3], s[4:5], 0x8
	s_load_dwordx8 s[8:15], s[4:5], 0x20
	s_load_dwordx2 s[18:19], s[4:5], 0x40
	s_mov_b32 s16, s7
	s_ashr_i32 s17, s7, 31
	s_lshl_b64 s[6:7], s[16:17], 3
	s_waitcnt lgkmcnt(0)
	s_add_u32 s0, s0, s6
	s_addc_u32 s1, s1, s7
	s_add_u32 s6, s14, s6
	s_addc_u32 s7, s15, s7
	s_load_dwordx2 s[14:15], s[6:7], 0x0
	s_cmp_eq_u64 s[8:9], 0
	s_mov_b64 s[6:7], 0
	s_cbranch_scc1 .LBB5_2
; %bb.1:
	s_mul_i32 s6, s12, s17
	s_mul_hi_u32 s7, s12, s16
	s_add_i32 s6, s7, s6
	s_mul_i32 s7, s13, s16
	s_add_i32 s7, s6, s7
	s_mul_i32 s6, s12, s16
	s_lshl_b64 s[6:7], s[6:7], 3
	s_add_u32 s8, s8, s6
	s_addc_u32 s9, s9, s7
	s_lshl_b64 s[6:7], s[10:11], 3
	s_add_u32 s6, s8, s6
	s_addc_u32 s7, s9, s7
.LBB5_2:
	s_load_dwordx2 s[10:11], s[0:1], 0x0
	s_load_dword s21, s[4:5], 0x0
	s_load_dword s22, s[4:5], 0x48
	s_lshl_b64 s[0:1], s[18:19], 4
	s_waitcnt lgkmcnt(0)
	s_add_u32 s20, s14, s0
	s_addc_u32 s23, s15, s1
	s_add_i32 s21, s21, -1
	v_mul_lo_u32 v7, v0, s22
	v_mov_b32_e32 v1, 0
	v_mov_b32_e32 v3, 0
	;; [unrolled: 1-line block ×4, first 2 shown]
	v_cmp_gt_i32_e64 s[0:1], s21, v0
	s_and_saveexec_b64 s[8:9], s[0:1]
	s_cbranch_execz .LBB5_6
; %bb.3:
	v_mul_lo_u32 v5, v0, s22
	v_mov_b32_e32 v1, 0
	v_mov_b32_e32 v3, 0
	s_lshl_b32 s14, s22, 6
	v_mov_b32_e32 v2, 0
	s_mov_b64 s[12:13], 0
	v_mov_b32_e32 v8, s23
	v_mov_b32_e32 v4, 0
	;; [unrolled: 1-line block ×3, first 2 shown]
.LBB5_4:                                ; =>This Inner Loop Header: Depth=1
	v_ashrrev_i32_e32 v6, 31, v5
	v_lshlrev_b64 v[10:11], 4, v[5:6]
	v_add_u32_e32 v9, 64, v9
	v_add_co_u32_e32 v10, vcc, s20, v10
	v_addc_co_u32_e32 v11, vcc, v8, v11, vcc
	flat_load_dwordx4 v[10:13], v[10:11]
	v_cmp_le_i32_e32 vcc, s21, v9
	s_or_b64 s[12:13], vcc, s[12:13]
	v_add_u32_e32 v5, s14, v5
	s_waitcnt vmcnt(0) lgkmcnt(0)
	v_mul_f64 v[14:15], v[12:13], v[12:13]
	v_mul_f64 v[16:17], v[10:11], v[12:13]
	v_fma_f64 v[14:15], v[10:11], v[10:11], v[14:15]
	v_fma_f64 v[10:11], v[10:11], v[12:13], -v[16:17]
	v_add_f64 v[3:4], v[3:4], v[14:15]
	v_add_f64 v[1:2], v[1:2], v[10:11]
	s_andn2_b64 exec, exec, s[12:13]
	s_cbranch_execnz .LBB5_4
; %bb.5:
	s_or_b64 exec, exec, s[12:13]
.LBB5_6:
	s_or_b64 exec, exec, s[8:9]
	v_mbcnt_lo_u32_b32 v5, -1, 0
	v_mbcnt_hi_u32_b32 v10, -1, v5
	v_and_b32_e32 v11, 63, v10
	v_cmp_ne_u32_e32 vcc, 63, v11
	v_addc_co_u32_e32 v5, vcc, 0, v10, vcc
	v_lshlrev_b32_e32 v9, 2, v5
	ds_bpermute_b32 v5, v9, v3
	ds_bpermute_b32 v6, v9, v4
	;; [unrolled: 1-line block ×4, first 2 shown]
	v_cmp_gt_u32_e32 vcc, 62, v11
	s_waitcnt lgkmcnt(2)
	v_add_f64 v[3:4], v[3:4], v[5:6]
	v_cndmask_b32_e64 v5, 0, 2, vcc
	s_waitcnt lgkmcnt(0)
	v_add_f64 v[1:2], v[1:2], v[8:9]
	v_add_lshl_u32 v9, v5, v10, 2
	v_cmp_gt_u32_e32 vcc, 60, v11
	ds_bpermute_b32 v5, v9, v3
	ds_bpermute_b32 v6, v9, v4
	ds_bpermute_b32 v8, v9, v1
	ds_bpermute_b32 v9, v9, v2
	s_waitcnt lgkmcnt(2)
	v_add_f64 v[3:4], v[3:4], v[5:6]
	v_cndmask_b32_e64 v5, 0, 4, vcc
	s_waitcnt lgkmcnt(0)
	v_add_f64 v[1:2], v[1:2], v[8:9]
	v_add_lshl_u32 v9, v5, v10, 2
	v_cmp_gt_u32_e32 vcc, 56, v11
	ds_bpermute_b32 v5, v9, v3
	ds_bpermute_b32 v6, v9, v4
	ds_bpermute_b32 v8, v9, v1
	ds_bpermute_b32 v9, v9, v2
	;; [unrolled: 11-line block ×3, first 2 shown]
	s_waitcnt lgkmcnt(2)
	v_add_f64 v[3:4], v[3:4], v[5:6]
	v_cndmask_b32_e64 v5, 0, 16, vcc
	s_waitcnt lgkmcnt(0)
	v_add_f64 v[1:2], v[1:2], v[8:9]
	v_add_lshl_u32 v9, v5, v10, 2
	v_cmp_eq_u32_e32 vcc, 0, v0
	ds_bpermute_b32 v5, v9, v3
	ds_bpermute_b32 v6, v9, v4
	ds_bpermute_b32 v8, v9, v1
	ds_bpermute_b32 v9, v9, v2
	s_waitcnt lgkmcnt(2)
	v_add_f64 v[3:4], v[3:4], v[5:6]
	s_waitcnt lgkmcnt(0)
	v_add_f64 v[5:6], v[1:2], v[8:9]
	v_mov_b32_e32 v1, 0x80
	v_lshl_or_b32 v9, v10, 2, v1
	ds_bpermute_b32 v1, v9, v3
	ds_bpermute_b32 v2, v9, v4
	;; [unrolled: 1-line block ×4, first 2 shown]
	s_waitcnt lgkmcnt(2)
	v_add_f64 v[1:2], v[3:4], v[1:2]
	s_waitcnt lgkmcnt(0)
	v_add_f64 v[3:4], v[5:6], v[8:9]
	s_and_saveexec_b64 s[8:9], vcc
; %bb.7:
	v_lshrrev_b32_e32 v5, 2, v0
	ds_write_b128 v5, v[1:4]
; %bb.8:
	s_or_b64 exec, exec, s[8:9]
	v_cmp_eq_u32_e32 vcc, 0, v0
	s_waitcnt lgkmcnt(0)
	; wave barrier
	s_and_saveexec_b64 s[8:9], vcc
; %bb.9:
	v_mov_b32_e32 v5, 0
	ds_write_b128 v5, v[1:4]
; %bb.10:
	s_or_b64 exec, exec, s[8:9]
	s_waitcnt lgkmcnt(0)
	; wave barrier
	s_and_saveexec_b64 s[8:9], vcc
	s_cbranch_execz .LBB5_18
; %bb.11:
	s_lshl_b64 s[2:3], s[2:3], 4
	s_add_u32 s10, s10, s2
	s_addc_u32 s11, s11, s3
	v_mov_b32_e32 v1, s10
	v_mov_b32_e32 v2, s11
	flat_load_dwordx2 v[4:5], v[1:2] offset:8
	v_mov_b32_e32 v3, 0
	ds_read_b64 v[10:11], v3
	s_load_dwordx4 s[12:15], s[4:5], 0x58
	s_waitcnt lgkmcnt(0)
	v_max_f64 v[1:2], v[10:11], v[10:11]
	s_mul_i32 s2, s14, s17
	s_mul_hi_u32 s3, s14, s16
	s_add_i32 s2, s3, s2
	s_mul_i32 s3, s15, s16
	s_add_i32 s3, s2, s3
	s_mul_i32 s2, s14, s16
	s_lshl_b64 s[2:3], s[2:3], 4
	s_add_u32 s4, s12, s2
	s_addc_u32 s5, s13, s3
	s_cmp_eq_u64 s[6:7], 0
	s_cselect_b64 s[14:15], -1, 0
	s_cmp_lg_u64 s[6:7], 0
	s_mov_b64 s[2:3], 0
	s_cselect_b64 s[12:13], -1, 0
	s_mov_b64 s[16:17], 0
	s_waitcnt vmcnt(0)
	v_mul_f64 v[8:9], v[4:5], v[4:5]
	v_max_f64 v[1:2], v[1:2], v[8:9]
	v_cmp_nlt_f64_e32 vcc, 0, v[1:2]
                                        ; implicit-def: $vgpr1_vgpr2
	s_and_saveexec_b64 s[18:19], vcc
	s_xor_b64 s[18:19], exec, s[18:19]
	s_cbranch_execz .LBB5_14
; %bb.12:
	v_mov_b32_e32 v4, 0x3ff00000
	v_mov_b32_e32 v5, v3
	v_mov_b32_e32 v6, v3
	ds_write_b128 v3, v[3:6]
	v_mov_b32_e32 v4, v3
	s_and_b64 vcc, exec, s[12:13]
	global_store_dwordx4 v3, v[3:6], s[4:5]
	s_cbranch_vccz .LBB5_22
; %bb.13:
	v_mov_b32_e32 v1, s10
	v_mov_b32_e32 v2, s11
	flat_load_dwordx2 v[1:2], v[1:2]
	s_mov_b64 s[16:17], -1
	s_and_b64 s[16:17], s[16:17], exec
                                        ; implicit-def: $vgpr8_vgpr9
                                        ; implicit-def: $vgpr10_vgpr11
                                        ; implicit-def: $vgpr4_vgpr5
	s_andn2_saveexec_b64 s[18:19], s[18:19]
	s_cbranch_execz .LBB5_23
	s_branch .LBB5_15
.LBB5_14:
	s_andn2_saveexec_b64 s[18:19], s[18:19]
	s_cbranch_execz .LBB5_23
.LBB5_15:
	s_waitcnt vmcnt(0) lgkmcnt(0)
	v_mov_b32_e32 v1, s10
	v_mov_b32_e32 v2, s11
	flat_load_dwordx2 v[12:13], v[1:2]
	s_mov_b32 s2, 0
	s_brev_b32 s3, 8
	v_mov_b32_e32 v3, 0x100
	v_mov_b32_e32 v6, 0x260
	s_and_b64 s[12:13], s[12:13], exec
	s_waitcnt vmcnt(0) lgkmcnt(0)
	v_fma_f64 v[1:2], v[12:13], v[12:13], v[8:9]
	v_add_f64 v[1:2], v[10:11], v[1:2]
	v_cmp_gt_f64_e32 vcc, s[2:3], v[1:2]
	v_cndmask_b32_e32 v3, 0, v3, vcc
	v_ldexp_f64 v[1:2], v[1:2], v3
	v_mov_b32_e32 v3, 0xffffff80
	v_cndmask_b32_e32 v3, 0, v3, vcc
	v_rsq_f64_e32 v[10:11], v[1:2]
	v_cmp_class_f64_e32 vcc, v[1:2], v6
	v_mul_f64 v[14:15], v[1:2], v[10:11]
	v_mul_f64 v[10:11], v[10:11], 0.5
	v_fma_f64 v[16:17], -v[10:11], v[14:15], 0.5
	v_fma_f64 v[14:15], v[14:15], v[16:17], v[14:15]
	v_fma_f64 v[10:11], v[10:11], v[16:17], v[10:11]
	v_fma_f64 v[16:17], -v[14:15], v[14:15], v[1:2]
	v_fma_f64 v[14:15], v[16:17], v[10:11], v[14:15]
	v_fma_f64 v[16:17], -v[14:15], v[14:15], v[1:2]
	v_fma_f64 v[10:11], v[16:17], v[10:11], v[14:15]
	v_ldexp_f64 v[10:11], v[10:11], v3
	v_cndmask_b32_e32 v2, v11, v2, vcc
	v_cndmask_b32_e32 v1, v10, v1, vcc
	v_cmp_le_f64_e32 vcc, 0, v[12:13]
	v_xor_b32_e32 v3, 0x80000000, v2
	v_cndmask_b32_e32 v2, v2, v3, vcc
	v_add_f64 v[10:11], v[12:13], -v[1:2]
	v_add_f64 v[12:13], v[1:2], -v[12:13]
	v_mov_b32_e32 v3, 0
	v_fma_f64 v[14:15], v[10:11], v[10:11], v[8:9]
	v_div_scale_f64 v[8:9], s[2:3], v[14:15], v[14:15], v[10:11]
	v_div_scale_f64 v[16:17], s[2:3], v[14:15], v[14:15], -v[4:5]
	v_rcp_f64_e32 v[18:19], v[8:9]
	v_rcp_f64_e32 v[20:21], v[16:17]
	v_fma_f64 v[22:23], -v[8:9], v[18:19], 1.0
	v_fma_f64 v[24:25], -v[16:17], v[20:21], 1.0
	v_fma_f64 v[18:19], v[18:19], v[22:23], v[18:19]
	v_fma_f64 v[20:21], v[20:21], v[24:25], v[20:21]
	v_div_scale_f64 v[24:25], vcc, v[10:11], v[14:15], v[10:11]
	v_fma_f64 v[22:23], -v[8:9], v[18:19], 1.0
	v_fma_f64 v[18:19], v[18:19], v[22:23], v[18:19]
	v_fma_f64 v[22:23], -v[16:17], v[20:21], 1.0
	v_fma_f64 v[20:21], v[20:21], v[22:23], v[20:21]
	v_mul_f64 v[22:23], v[24:25], v[18:19]
	v_fma_f64 v[8:9], -v[8:9], v[22:23], v[24:25]
	v_div_scale_f64 v[24:25], s[2:3], -v[4:5], v[14:15], -v[4:5]
	v_div_fmas_f64 v[8:9], v[8:9], v[18:19], v[22:23]
	v_div_scale_f64 v[18:19], s[24:25], v[1:2], v[1:2], v[12:13]
	s_mov_b64 vcc, s[2:3]
	v_mul_f64 v[22:23], v[24:25], v[20:21]
	v_div_fixup_f64 v[8:9], v[8:9], v[14:15], v[10:11]
	v_fma_f64 v[16:17], -v[16:17], v[22:23], v[24:25]
	v_rcp_f64_e32 v[24:25], v[18:19]
	v_div_fmas_f64 v[16:17], v[16:17], v[20:21], v[22:23]
	v_div_scale_f64 v[20:21], vcc, v[12:13], v[1:2], v[12:13]
	v_fma_f64 v[26:27], -v[18:19], v[24:25], 1.0
	v_div_fixup_f64 v[10:11], v[16:17], v[14:15], -v[4:5]
	v_fma_f64 v[24:25], v[24:25], v[26:27], v[24:25]
	ds_write_b128 v3, v[8:11]
	v_fma_f64 v[22:23], -v[18:19], v[24:25], 1.0
	v_fma_f64 v[22:23], v[24:25], v[22:23], v[24:25]
	v_mul_f64 v[24:25], v[20:21], v[22:23]
	v_fma_f64 v[18:19], -v[18:19], v[24:25], v[20:21]
	v_div_scale_f64 v[20:21], s[2:3], v[1:2], v[1:2], -v[4:5]
	s_and_b64 s[2:3], s[14:15], exec
	s_andn2_b64 s[14:15], s[16:17], exec
	s_or_b64 s[16:17], s[14:15], s[12:13]
	v_div_fmas_f64 v[18:19], v[18:19], v[22:23], v[24:25]
	v_rcp_f64_e32 v[22:23], v[20:21]
	v_div_fixup_f64 v[12:13], v[18:19], v[1:2], v[12:13]
	v_fma_f64 v[24:25], -v[20:21], v[22:23], 1.0
	v_fma_f64 v[22:23], v[22:23], v[24:25], v[22:23]
	v_fma_f64 v[24:25], -v[20:21], v[22:23], 1.0
	v_fma_f64 v[22:23], v[22:23], v[24:25], v[22:23]
	v_div_scale_f64 v[24:25], vcc, -v[4:5], v[1:2], -v[4:5]
	v_mul_f64 v[26:27], v[24:25], v[22:23]
	v_fma_f64 v[20:21], -v[20:21], v[26:27], v[24:25]
	s_nop 1
	v_div_fmas_f64 v[20:21], v[20:21], v[22:23], v[26:27]
	v_div_fixup_f64 v[14:15], v[20:21], v[1:2], -v[4:5]
	global_store_dwordx4 v3, v[12:15], s[4:5]
	s_or_b64 exec, exec, s[18:19]
	s_and_saveexec_b64 s[4:5], s[16:17]
	s_cbranch_execnz .LBB5_24
.LBB5_16:
	s_or_b64 exec, exec, s[4:5]
	s_and_b64 exec, exec, s[2:3]
	s_cbranch_execz .LBB5_18
.LBB5_17:
	v_mov_b32_e32 v3, 0
	v_mov_b32_e32 v5, s10
	;; [unrolled: 1-line block ×4, first 2 shown]
	s_waitcnt vmcnt(0) lgkmcnt(0)
	flat_store_dwordx4 v[5:6], v[1:4]
.LBB5_18:
	s_or_b64 exec, exec, s[8:9]
	s_waitcnt lgkmcnt(0)
	; wave barrier
	s_and_saveexec_b64 s[2:3], s[0:1]
	s_cbranch_execz .LBB5_21
; %bb.19:
	s_waitcnt vmcnt(0)
	v_mov_b32_e32 v1, 0
	ds_read_b128 v[1:4], v1
	s_lshl_b32 s2, s22, 6
	s_mov_b64 s[0:1], 0
	v_mov_b32_e32 v5, s23
.LBB5_20:                               ; =>This Inner Loop Header: Depth=1
	v_ashrrev_i32_e32 v8, 31, v7
	v_lshlrev_b64 v[8:9], 4, v[7:8]
	v_add_u32_e32 v0, 64, v0
	v_add_co_u32_e32 v14, vcc, s20, v8
	v_addc_co_u32_e32 v15, vcc, v5, v9, vcc
	flat_load_dwordx4 v[8:11], v[14:15]
	v_cmp_le_i32_e32 vcc, s21, v0
	s_or_b64 s[0:1], vcc, s[0:1]
	v_add_u32_e32 v7, s2, v7
	s_waitcnt vmcnt(0) lgkmcnt(0)
	v_mul_f64 v[12:13], v[3:4], v[10:11]
	v_mul_f64 v[16:17], v[1:2], v[10:11]
	v_fma_f64 v[10:11], v[1:2], v[8:9], -v[12:13]
	v_fma_f64 v[12:13], v[3:4], v[8:9], v[16:17]
	flat_store_dwordx4 v[14:15], v[10:13]
	s_andn2_b64 exec, exec, s[0:1]
	s_cbranch_execnz .LBB5_20
.LBB5_21:
	s_endpgm
.LBB5_22:
                                        ; implicit-def: $vgpr1_vgpr2
	s_and_b64 s[16:17], s[16:17], exec
                                        ; implicit-def: $vgpr8_vgpr9
                                        ; implicit-def: $vgpr10_vgpr11
                                        ; implicit-def: $vgpr4_vgpr5
	s_andn2_saveexec_b64 s[18:19], s[18:19]
	s_cbranch_execnz .LBB5_15
.LBB5_23:
	s_or_b64 exec, exec, s[18:19]
	s_and_saveexec_b64 s[4:5], s[16:17]
	s_cbranch_execz .LBB5_16
.LBB5_24:
	v_mov_b32_e32 v3, 0
	s_waitcnt vmcnt(0) lgkmcnt(0)
	global_store_dwordx2 v3, v[1:2], s[6:7]
	v_mov_b32_e32 v1, 0
	v_mov_b32_e32 v2, 0x3ff00000
	s_or_b64 s[2:3], s[2:3], exec
	s_or_b64 exec, exec, s[4:5]
	s_and_b64 exec, exec, s[2:3]
	s_cbranch_execnz .LBB5_17
	s_branch .LBB5_18
	.section	.rodata,"a",@progbits
	.p2align	6, 0x0
	.amdhsa_kernel _ZN9rocsolver6v33100L18larfg_kernel_smallILi64E19rocblas_complex_numIdEidPKPS3_EEvT1_T3_llPT2_llS8_lS7_lPT0_l
		.amdhsa_group_segment_fixed_size 16
		.amdhsa_private_segment_fixed_size 0
		.amdhsa_kernarg_size 104
		.amdhsa_user_sgpr_count 6
		.amdhsa_user_sgpr_private_segment_buffer 1
		.amdhsa_user_sgpr_dispatch_ptr 0
		.amdhsa_user_sgpr_queue_ptr 0
		.amdhsa_user_sgpr_kernarg_segment_ptr 1
		.amdhsa_user_sgpr_dispatch_id 0
		.amdhsa_user_sgpr_flat_scratch_init 0
		.amdhsa_user_sgpr_private_segment_size 0
		.amdhsa_uses_dynamic_stack 0
		.amdhsa_system_sgpr_private_segment_wavefront_offset 0
		.amdhsa_system_sgpr_workgroup_id_x 1
		.amdhsa_system_sgpr_workgroup_id_y 0
		.amdhsa_system_sgpr_workgroup_id_z 1
		.amdhsa_system_sgpr_workgroup_info 0
		.amdhsa_system_vgpr_workitem_id 0
		.amdhsa_next_free_vgpr 28
		.amdhsa_next_free_sgpr 26
		.amdhsa_reserve_vcc 1
		.amdhsa_reserve_flat_scratch 0
		.amdhsa_float_round_mode_32 0
		.amdhsa_float_round_mode_16_64 0
		.amdhsa_float_denorm_mode_32 3
		.amdhsa_float_denorm_mode_16_64 3
		.amdhsa_dx10_clamp 1
		.amdhsa_ieee_mode 1
		.amdhsa_fp16_overflow 0
		.amdhsa_exception_fp_ieee_invalid_op 0
		.amdhsa_exception_fp_denorm_src 0
		.amdhsa_exception_fp_ieee_div_zero 0
		.amdhsa_exception_fp_ieee_overflow 0
		.amdhsa_exception_fp_ieee_underflow 0
		.amdhsa_exception_fp_ieee_inexact 0
		.amdhsa_exception_int_div_zero 0
	.end_amdhsa_kernel
	.section	.text._ZN9rocsolver6v33100L18larfg_kernel_smallILi64E19rocblas_complex_numIdEidPKPS3_EEvT1_T3_llPT2_llS8_lS7_lPT0_l,"axG",@progbits,_ZN9rocsolver6v33100L18larfg_kernel_smallILi64E19rocblas_complex_numIdEidPKPS3_EEvT1_T3_llPT2_llS8_lS7_lPT0_l,comdat
.Lfunc_end5:
	.size	_ZN9rocsolver6v33100L18larfg_kernel_smallILi64E19rocblas_complex_numIdEidPKPS3_EEvT1_T3_llPT2_llS8_lS7_lPT0_l, .Lfunc_end5-_ZN9rocsolver6v33100L18larfg_kernel_smallILi64E19rocblas_complex_numIdEidPKPS3_EEvT1_T3_llPT2_llS8_lS7_lPT0_l
                                        ; -- End function
	.set _ZN9rocsolver6v33100L18larfg_kernel_smallILi64E19rocblas_complex_numIdEidPKPS3_EEvT1_T3_llPT2_llS8_lS7_lPT0_l.num_vgpr, 28
	.set _ZN9rocsolver6v33100L18larfg_kernel_smallILi64E19rocblas_complex_numIdEidPKPS3_EEvT1_T3_llPT2_llS8_lS7_lPT0_l.num_agpr, 0
	.set _ZN9rocsolver6v33100L18larfg_kernel_smallILi64E19rocblas_complex_numIdEidPKPS3_EEvT1_T3_llPT2_llS8_lS7_lPT0_l.numbered_sgpr, 26
	.set _ZN9rocsolver6v33100L18larfg_kernel_smallILi64E19rocblas_complex_numIdEidPKPS3_EEvT1_T3_llPT2_llS8_lS7_lPT0_l.num_named_barrier, 0
	.set _ZN9rocsolver6v33100L18larfg_kernel_smallILi64E19rocblas_complex_numIdEidPKPS3_EEvT1_T3_llPT2_llS8_lS7_lPT0_l.private_seg_size, 0
	.set _ZN9rocsolver6v33100L18larfg_kernel_smallILi64E19rocblas_complex_numIdEidPKPS3_EEvT1_T3_llPT2_llS8_lS7_lPT0_l.uses_vcc, 1
	.set _ZN9rocsolver6v33100L18larfg_kernel_smallILi64E19rocblas_complex_numIdEidPKPS3_EEvT1_T3_llPT2_llS8_lS7_lPT0_l.uses_flat_scratch, 0
	.set _ZN9rocsolver6v33100L18larfg_kernel_smallILi64E19rocblas_complex_numIdEidPKPS3_EEvT1_T3_llPT2_llS8_lS7_lPT0_l.has_dyn_sized_stack, 0
	.set _ZN9rocsolver6v33100L18larfg_kernel_smallILi64E19rocblas_complex_numIdEidPKPS3_EEvT1_T3_llPT2_llS8_lS7_lPT0_l.has_recursion, 0
	.set _ZN9rocsolver6v33100L18larfg_kernel_smallILi64E19rocblas_complex_numIdEidPKPS3_EEvT1_T3_llPT2_llS8_lS7_lPT0_l.has_indirect_call, 0
	.section	.AMDGPU.csdata,"",@progbits
; Kernel info:
; codeLenInByte = 2008
; TotalNumSgprs: 30
; NumVgprs: 28
; ScratchSize: 0
; MemoryBound: 0
; FloatMode: 240
; IeeeMode: 1
; LDSByteSize: 16 bytes/workgroup (compile time only)
; SGPRBlocks: 3
; VGPRBlocks: 6
; NumSGPRsForWavesPerEU: 30
; NumVGPRsForWavesPerEU: 28
; Occupancy: 9
; WaveLimiterHint : 1
; COMPUTE_PGM_RSRC2:SCRATCH_EN: 0
; COMPUTE_PGM_RSRC2:USER_SGPR: 6
; COMPUTE_PGM_RSRC2:TRAP_HANDLER: 0
; COMPUTE_PGM_RSRC2:TGID_X_EN: 1
; COMPUTE_PGM_RSRC2:TGID_Y_EN: 0
; COMPUTE_PGM_RSRC2:TGID_Z_EN: 1
; COMPUTE_PGM_RSRC2:TIDIG_COMP_CNT: 0
	.section	.text._ZN9rocsolver6v33100L18larfg_kernel_smallILi128E19rocblas_complex_numIdEidPKPS3_EEvT1_T3_llPT2_llS8_lS7_lPT0_l,"axG",@progbits,_ZN9rocsolver6v33100L18larfg_kernel_smallILi128E19rocblas_complex_numIdEidPKPS3_EEvT1_T3_llPT2_llS8_lS7_lPT0_l,comdat
	.globl	_ZN9rocsolver6v33100L18larfg_kernel_smallILi128E19rocblas_complex_numIdEidPKPS3_EEvT1_T3_llPT2_llS8_lS7_lPT0_l ; -- Begin function _ZN9rocsolver6v33100L18larfg_kernel_smallILi128E19rocblas_complex_numIdEidPKPS3_EEvT1_T3_llPT2_llS8_lS7_lPT0_l
	.p2align	8
	.type	_ZN9rocsolver6v33100L18larfg_kernel_smallILi128E19rocblas_complex_numIdEidPKPS3_EEvT1_T3_llPT2_llS8_lS7_lPT0_l,@function
_ZN9rocsolver6v33100L18larfg_kernel_smallILi128E19rocblas_complex_numIdEidPKPS3_EEvT1_T3_llPT2_llS8_lS7_lPT0_l: ; @_ZN9rocsolver6v33100L18larfg_kernel_smallILi128E19rocblas_complex_numIdEidPKPS3_EEvT1_T3_llPT2_llS8_lS7_lPT0_l
; %bb.0:
	s_load_dwordx4 s[0:3], s[4:5], 0x8
	s_load_dwordx8 s[8:15], s[4:5], 0x20
	s_load_dwordx2 s[18:19], s[4:5], 0x40
	s_mov_b32 s16, s7
	s_ashr_i32 s17, s7, 31
	s_lshl_b64 s[6:7], s[16:17], 3
	s_waitcnt lgkmcnt(0)
	s_add_u32 s0, s0, s6
	s_addc_u32 s1, s1, s7
	s_add_u32 s6, s14, s6
	s_addc_u32 s7, s15, s7
	s_load_dwordx2 s[14:15], s[6:7], 0x0
	s_cmp_eq_u64 s[8:9], 0
	s_mov_b64 s[6:7], 0
	s_cbranch_scc1 .LBB6_2
; %bb.1:
	s_mul_i32 s6, s12, s17
	s_mul_hi_u32 s7, s12, s16
	s_add_i32 s6, s7, s6
	s_mul_i32 s7, s13, s16
	s_add_i32 s7, s6, s7
	s_mul_i32 s6, s12, s16
	s_lshl_b64 s[6:7], s[6:7], 3
	s_add_u32 s8, s8, s6
	s_addc_u32 s9, s9, s7
	s_lshl_b64 s[6:7], s[10:11], 3
	s_add_u32 s6, s8, s6
	s_addc_u32 s7, s9, s7
.LBB6_2:
	s_load_dwordx2 s[10:11], s[0:1], 0x0
	s_load_dword s21, s[4:5], 0x0
	s_load_dword s22, s[4:5], 0x48
	s_lshl_b64 s[0:1], s[18:19], 4
	s_waitcnt lgkmcnt(0)
	s_add_u32 s20, s14, s0
	s_addc_u32 s23, s15, s1
	s_add_i32 s21, s21, -1
	v_mul_lo_u32 v7, v0, s22
	v_mov_b32_e32 v1, 0
	v_mov_b32_e32 v3, 0
	;; [unrolled: 1-line block ×4, first 2 shown]
	v_cmp_gt_i32_e64 s[0:1], s21, v0
	s_and_saveexec_b64 s[8:9], s[0:1]
	s_cbranch_execz .LBB6_6
; %bb.3:
	v_mul_lo_u32 v5, v0, s22
	v_mov_b32_e32 v1, 0
	v_mov_b32_e32 v3, 0
	s_lshl_b32 s14, s22, 7
	v_mov_b32_e32 v2, 0
	s_mov_b64 s[12:13], 0
	v_mov_b32_e32 v8, s23
	v_mov_b32_e32 v4, 0
	;; [unrolled: 1-line block ×3, first 2 shown]
.LBB6_4:                                ; =>This Inner Loop Header: Depth=1
	v_ashrrev_i32_e32 v6, 31, v5
	v_lshlrev_b64 v[10:11], 4, v[5:6]
	v_add_u32_e32 v9, 0x80, v9
	v_add_co_u32_e32 v10, vcc, s20, v10
	v_addc_co_u32_e32 v11, vcc, v8, v11, vcc
	flat_load_dwordx4 v[10:13], v[10:11]
	v_cmp_le_i32_e32 vcc, s21, v9
	s_or_b64 s[12:13], vcc, s[12:13]
	v_add_u32_e32 v5, s14, v5
	s_waitcnt vmcnt(0) lgkmcnt(0)
	v_mul_f64 v[14:15], v[12:13], v[12:13]
	v_mul_f64 v[16:17], v[10:11], v[12:13]
	v_fma_f64 v[14:15], v[10:11], v[10:11], v[14:15]
	v_fma_f64 v[10:11], v[10:11], v[12:13], -v[16:17]
	v_add_f64 v[3:4], v[3:4], v[14:15]
	v_add_f64 v[1:2], v[1:2], v[10:11]
	s_andn2_b64 exec, exec, s[12:13]
	s_cbranch_execnz .LBB6_4
; %bb.5:
	s_or_b64 exec, exec, s[12:13]
.LBB6_6:
	s_or_b64 exec, exec, s[8:9]
	v_mbcnt_lo_u32_b32 v5, -1, 0
	v_mbcnt_hi_u32_b32 v10, -1, v5
	v_and_b32_e32 v11, 63, v10
	v_cmp_ne_u32_e32 vcc, 63, v11
	v_addc_co_u32_e32 v5, vcc, 0, v10, vcc
	v_lshlrev_b32_e32 v9, 2, v5
	ds_bpermute_b32 v5, v9, v3
	ds_bpermute_b32 v6, v9, v4
	;; [unrolled: 1-line block ×4, first 2 shown]
	v_cmp_gt_u32_e32 vcc, 62, v11
	s_waitcnt lgkmcnt(2)
	v_add_f64 v[3:4], v[3:4], v[5:6]
	v_cndmask_b32_e64 v5, 0, 2, vcc
	s_waitcnt lgkmcnt(0)
	v_add_f64 v[1:2], v[1:2], v[8:9]
	v_add_lshl_u32 v9, v5, v10, 2
	v_cmp_gt_u32_e32 vcc, 60, v11
	ds_bpermute_b32 v5, v9, v3
	ds_bpermute_b32 v6, v9, v4
	ds_bpermute_b32 v8, v9, v1
	ds_bpermute_b32 v9, v9, v2
	s_waitcnt lgkmcnt(2)
	v_add_f64 v[3:4], v[3:4], v[5:6]
	v_cndmask_b32_e64 v5, 0, 4, vcc
	s_waitcnt lgkmcnt(0)
	v_add_f64 v[1:2], v[1:2], v[8:9]
	v_add_lshl_u32 v9, v5, v10, 2
	v_cmp_gt_u32_e32 vcc, 56, v11
	ds_bpermute_b32 v5, v9, v3
	ds_bpermute_b32 v6, v9, v4
	ds_bpermute_b32 v8, v9, v1
	ds_bpermute_b32 v9, v9, v2
	;; [unrolled: 11-line block ×3, first 2 shown]
	s_waitcnt lgkmcnt(2)
	v_add_f64 v[3:4], v[3:4], v[5:6]
	v_cndmask_b32_e64 v5, 0, 16, vcc
	s_waitcnt lgkmcnt(0)
	v_add_f64 v[1:2], v[1:2], v[8:9]
	v_add_lshl_u32 v9, v5, v10, 2
	ds_bpermute_b32 v5, v9, v3
	ds_bpermute_b32 v6, v9, v4
	;; [unrolled: 1-line block ×4, first 2 shown]
	s_waitcnt lgkmcnt(2)
	v_add_f64 v[3:4], v[3:4], v[5:6]
	s_waitcnt lgkmcnt(0)
	v_add_f64 v[5:6], v[1:2], v[8:9]
	v_mov_b32_e32 v1, 0x80
	v_lshl_or_b32 v9, v10, 2, v1
	ds_bpermute_b32 v1, v9, v3
	ds_bpermute_b32 v2, v9, v4
	;; [unrolled: 1-line block ×4, first 2 shown]
	s_waitcnt lgkmcnt(2)
	v_add_f64 v[1:2], v[3:4], v[1:2]
	s_waitcnt lgkmcnt(0)
	v_add_f64 v[3:4], v[5:6], v[8:9]
	v_and_b32_e32 v5, 63, v0
	v_cmp_eq_u32_e32 vcc, 0, v5
	s_and_saveexec_b64 s[8:9], vcc
; %bb.7:
	v_lshrrev_b32_e32 v5, 2, v0
	ds_write_b128 v5, v[1:4]
; %bb.8:
	s_or_b64 exec, exec, s[8:9]
	v_cmp_eq_u32_e32 vcc, 0, v0
	s_waitcnt lgkmcnt(0)
	s_barrier
	s_and_saveexec_b64 s[8:9], vcc
	s_cbranch_execz .LBB6_10
; %bb.9:
	v_mov_b32_e32 v5, 0
	ds_read_b128 v[8:11], v5 offset:16
	s_waitcnt lgkmcnt(0)
	v_add_f64 v[3:4], v[3:4], v[10:11]
	v_add_f64 v[1:2], v[1:2], v[8:9]
	ds_write_b128 v5, v[1:4]
.LBB6_10:
	s_or_b64 exec, exec, s[8:9]
	s_waitcnt lgkmcnt(0)
	s_barrier
	s_and_saveexec_b64 s[8:9], vcc
	s_cbranch_execz .LBB6_18
; %bb.11:
	s_lshl_b64 s[2:3], s[2:3], 4
	s_add_u32 s10, s10, s2
	s_addc_u32 s11, s11, s3
	v_mov_b32_e32 v1, s10
	v_mov_b32_e32 v2, s11
	flat_load_dwordx2 v[4:5], v[1:2] offset:8
	v_mov_b32_e32 v3, 0
	ds_read_b64 v[10:11], v3
	s_load_dwordx4 s[12:15], s[4:5], 0x58
	s_waitcnt lgkmcnt(0)
	v_max_f64 v[1:2], v[10:11], v[10:11]
	s_mul_i32 s2, s14, s17
	s_mul_hi_u32 s3, s14, s16
	s_add_i32 s2, s3, s2
	s_mul_i32 s3, s15, s16
	s_add_i32 s3, s2, s3
	s_mul_i32 s2, s14, s16
	s_lshl_b64 s[2:3], s[2:3], 4
	s_add_u32 s4, s12, s2
	s_addc_u32 s5, s13, s3
	s_cmp_eq_u64 s[6:7], 0
	s_cselect_b64 s[14:15], -1, 0
	s_cmp_lg_u64 s[6:7], 0
	s_mov_b64 s[2:3], 0
	s_cselect_b64 s[12:13], -1, 0
	s_mov_b64 s[16:17], 0
	s_waitcnt vmcnt(0)
	v_mul_f64 v[8:9], v[4:5], v[4:5]
	v_max_f64 v[1:2], v[1:2], v[8:9]
	v_cmp_nlt_f64_e32 vcc, 0, v[1:2]
                                        ; implicit-def: $vgpr1_vgpr2
	s_and_saveexec_b64 s[18:19], vcc
	s_xor_b64 s[18:19], exec, s[18:19]
	s_cbranch_execz .LBB6_14
; %bb.12:
	v_mov_b32_e32 v4, 0x3ff00000
	v_mov_b32_e32 v5, v3
	;; [unrolled: 1-line block ×3, first 2 shown]
	ds_write_b128 v3, v[3:6]
	v_mov_b32_e32 v4, v3
	s_and_b64 vcc, exec, s[12:13]
	global_store_dwordx4 v3, v[3:6], s[4:5]
	s_cbranch_vccz .LBB6_22
; %bb.13:
	v_mov_b32_e32 v1, s10
	v_mov_b32_e32 v2, s11
	flat_load_dwordx2 v[1:2], v[1:2]
	s_mov_b64 s[16:17], -1
	s_and_b64 s[16:17], s[16:17], exec
                                        ; implicit-def: $vgpr8_vgpr9
                                        ; implicit-def: $vgpr10_vgpr11
                                        ; implicit-def: $vgpr4_vgpr5
	s_andn2_saveexec_b64 s[18:19], s[18:19]
	s_cbranch_execz .LBB6_23
	s_branch .LBB6_15
.LBB6_14:
	s_andn2_saveexec_b64 s[18:19], s[18:19]
	s_cbranch_execz .LBB6_23
.LBB6_15:
	s_waitcnt vmcnt(0) lgkmcnt(0)
	v_mov_b32_e32 v1, s10
	v_mov_b32_e32 v2, s11
	flat_load_dwordx2 v[12:13], v[1:2]
	s_mov_b32 s2, 0
	s_brev_b32 s3, 8
	v_mov_b32_e32 v3, 0x100
	v_mov_b32_e32 v6, 0x260
	s_and_b64 s[12:13], s[12:13], exec
	s_waitcnt vmcnt(0) lgkmcnt(0)
	v_fma_f64 v[1:2], v[12:13], v[12:13], v[8:9]
	v_add_f64 v[1:2], v[10:11], v[1:2]
	v_cmp_gt_f64_e32 vcc, s[2:3], v[1:2]
	v_cndmask_b32_e32 v3, 0, v3, vcc
	v_ldexp_f64 v[1:2], v[1:2], v3
	v_mov_b32_e32 v3, 0xffffff80
	v_cndmask_b32_e32 v3, 0, v3, vcc
	v_rsq_f64_e32 v[10:11], v[1:2]
	v_cmp_class_f64_e32 vcc, v[1:2], v6
	v_mul_f64 v[14:15], v[1:2], v[10:11]
	v_mul_f64 v[10:11], v[10:11], 0.5
	v_fma_f64 v[16:17], -v[10:11], v[14:15], 0.5
	v_fma_f64 v[14:15], v[14:15], v[16:17], v[14:15]
	v_fma_f64 v[10:11], v[10:11], v[16:17], v[10:11]
	v_fma_f64 v[16:17], -v[14:15], v[14:15], v[1:2]
	v_fma_f64 v[14:15], v[16:17], v[10:11], v[14:15]
	v_fma_f64 v[16:17], -v[14:15], v[14:15], v[1:2]
	v_fma_f64 v[10:11], v[16:17], v[10:11], v[14:15]
	v_ldexp_f64 v[10:11], v[10:11], v3
	v_cndmask_b32_e32 v2, v11, v2, vcc
	v_cndmask_b32_e32 v1, v10, v1, vcc
	v_cmp_le_f64_e32 vcc, 0, v[12:13]
	v_xor_b32_e32 v3, 0x80000000, v2
	v_cndmask_b32_e32 v2, v2, v3, vcc
	v_add_f64 v[10:11], v[12:13], -v[1:2]
	v_add_f64 v[12:13], v[1:2], -v[12:13]
	v_mov_b32_e32 v3, 0
	v_fma_f64 v[14:15], v[10:11], v[10:11], v[8:9]
	v_div_scale_f64 v[8:9], s[2:3], v[14:15], v[14:15], v[10:11]
	v_div_scale_f64 v[16:17], s[2:3], v[14:15], v[14:15], -v[4:5]
	v_rcp_f64_e32 v[18:19], v[8:9]
	v_rcp_f64_e32 v[20:21], v[16:17]
	v_fma_f64 v[22:23], -v[8:9], v[18:19], 1.0
	v_fma_f64 v[24:25], -v[16:17], v[20:21], 1.0
	v_fma_f64 v[18:19], v[18:19], v[22:23], v[18:19]
	v_fma_f64 v[20:21], v[20:21], v[24:25], v[20:21]
	v_div_scale_f64 v[24:25], vcc, v[10:11], v[14:15], v[10:11]
	v_fma_f64 v[22:23], -v[8:9], v[18:19], 1.0
	v_fma_f64 v[18:19], v[18:19], v[22:23], v[18:19]
	v_fma_f64 v[22:23], -v[16:17], v[20:21], 1.0
	v_fma_f64 v[20:21], v[20:21], v[22:23], v[20:21]
	v_mul_f64 v[22:23], v[24:25], v[18:19]
	v_fma_f64 v[8:9], -v[8:9], v[22:23], v[24:25]
	v_div_scale_f64 v[24:25], s[2:3], -v[4:5], v[14:15], -v[4:5]
	v_div_fmas_f64 v[8:9], v[8:9], v[18:19], v[22:23]
	v_div_scale_f64 v[18:19], s[24:25], v[1:2], v[1:2], v[12:13]
	s_mov_b64 vcc, s[2:3]
	v_mul_f64 v[22:23], v[24:25], v[20:21]
	v_div_fixup_f64 v[8:9], v[8:9], v[14:15], v[10:11]
	v_fma_f64 v[16:17], -v[16:17], v[22:23], v[24:25]
	v_rcp_f64_e32 v[24:25], v[18:19]
	v_div_fmas_f64 v[16:17], v[16:17], v[20:21], v[22:23]
	v_div_scale_f64 v[20:21], vcc, v[12:13], v[1:2], v[12:13]
	v_fma_f64 v[26:27], -v[18:19], v[24:25], 1.0
	v_div_fixup_f64 v[10:11], v[16:17], v[14:15], -v[4:5]
	v_fma_f64 v[24:25], v[24:25], v[26:27], v[24:25]
	ds_write_b128 v3, v[8:11]
	v_fma_f64 v[22:23], -v[18:19], v[24:25], 1.0
	v_fma_f64 v[22:23], v[24:25], v[22:23], v[24:25]
	v_mul_f64 v[24:25], v[20:21], v[22:23]
	v_fma_f64 v[18:19], -v[18:19], v[24:25], v[20:21]
	v_div_scale_f64 v[20:21], s[2:3], v[1:2], v[1:2], -v[4:5]
	s_and_b64 s[2:3], s[14:15], exec
	s_andn2_b64 s[14:15], s[16:17], exec
	s_or_b64 s[16:17], s[14:15], s[12:13]
	v_div_fmas_f64 v[18:19], v[18:19], v[22:23], v[24:25]
	v_rcp_f64_e32 v[22:23], v[20:21]
	v_div_fixup_f64 v[12:13], v[18:19], v[1:2], v[12:13]
	v_fma_f64 v[24:25], -v[20:21], v[22:23], 1.0
	v_fma_f64 v[22:23], v[22:23], v[24:25], v[22:23]
	v_fma_f64 v[24:25], -v[20:21], v[22:23], 1.0
	v_fma_f64 v[22:23], v[22:23], v[24:25], v[22:23]
	v_div_scale_f64 v[24:25], vcc, -v[4:5], v[1:2], -v[4:5]
	v_mul_f64 v[26:27], v[24:25], v[22:23]
	v_fma_f64 v[20:21], -v[20:21], v[26:27], v[24:25]
	s_nop 1
	v_div_fmas_f64 v[20:21], v[20:21], v[22:23], v[26:27]
	v_div_fixup_f64 v[14:15], v[20:21], v[1:2], -v[4:5]
	global_store_dwordx4 v3, v[12:15], s[4:5]
	s_or_b64 exec, exec, s[18:19]
	s_and_saveexec_b64 s[4:5], s[16:17]
	s_cbranch_execnz .LBB6_24
.LBB6_16:
	s_or_b64 exec, exec, s[4:5]
	s_and_b64 exec, exec, s[2:3]
	s_cbranch_execz .LBB6_18
.LBB6_17:
	v_mov_b32_e32 v3, 0
	v_mov_b32_e32 v5, s10
	;; [unrolled: 1-line block ×4, first 2 shown]
	s_waitcnt vmcnt(0) lgkmcnt(0)
	flat_store_dwordx4 v[5:6], v[1:4]
.LBB6_18:
	s_or_b64 exec, exec, s[8:9]
	s_waitcnt vmcnt(0) lgkmcnt(0)
	s_barrier
	s_and_saveexec_b64 s[2:3], s[0:1]
	s_cbranch_execz .LBB6_21
; %bb.19:
	v_mov_b32_e32 v1, 0
	ds_read_b128 v[1:4], v1
	s_lshl_b32 s2, s22, 7
	s_mov_b64 s[0:1], 0
	v_mov_b32_e32 v5, s23
.LBB6_20:                               ; =>This Inner Loop Header: Depth=1
	v_ashrrev_i32_e32 v8, 31, v7
	v_lshlrev_b64 v[8:9], 4, v[7:8]
	v_add_u32_e32 v0, 0x80, v0
	v_add_co_u32_e32 v14, vcc, s20, v8
	v_addc_co_u32_e32 v15, vcc, v5, v9, vcc
	flat_load_dwordx4 v[8:11], v[14:15]
	v_cmp_le_i32_e32 vcc, s21, v0
	s_or_b64 s[0:1], vcc, s[0:1]
	v_add_u32_e32 v7, s2, v7
	s_waitcnt vmcnt(0) lgkmcnt(0)
	v_mul_f64 v[12:13], v[3:4], v[10:11]
	v_mul_f64 v[16:17], v[1:2], v[10:11]
	v_fma_f64 v[10:11], v[1:2], v[8:9], -v[12:13]
	v_fma_f64 v[12:13], v[3:4], v[8:9], v[16:17]
	flat_store_dwordx4 v[14:15], v[10:13]
	s_andn2_b64 exec, exec, s[0:1]
	s_cbranch_execnz .LBB6_20
.LBB6_21:
	s_endpgm
.LBB6_22:
                                        ; implicit-def: $vgpr1_vgpr2
	s_and_b64 s[16:17], s[16:17], exec
                                        ; implicit-def: $vgpr8_vgpr9
                                        ; implicit-def: $vgpr10_vgpr11
                                        ; implicit-def: $vgpr4_vgpr5
	s_andn2_saveexec_b64 s[18:19], s[18:19]
	s_cbranch_execnz .LBB6_15
.LBB6_23:
	s_or_b64 exec, exec, s[18:19]
	s_and_saveexec_b64 s[4:5], s[16:17]
	s_cbranch_execz .LBB6_16
.LBB6_24:
	v_mov_b32_e32 v3, 0
	s_waitcnt vmcnt(0) lgkmcnt(0)
	global_store_dwordx2 v3, v[1:2], s[6:7]
	v_mov_b32_e32 v1, 0
	v_mov_b32_e32 v2, 0x3ff00000
	s_or_b64 s[2:3], s[2:3], exec
	s_or_b64 exec, exec, s[4:5]
	s_and_b64 exec, exec, s[2:3]
	s_cbranch_execnz .LBB6_17
	s_branch .LBB6_18
	.section	.rodata,"a",@progbits
	.p2align	6, 0x0
	.amdhsa_kernel _ZN9rocsolver6v33100L18larfg_kernel_smallILi128E19rocblas_complex_numIdEidPKPS3_EEvT1_T3_llPT2_llS8_lS7_lPT0_l
		.amdhsa_group_segment_fixed_size 32
		.amdhsa_private_segment_fixed_size 0
		.amdhsa_kernarg_size 104
		.amdhsa_user_sgpr_count 6
		.amdhsa_user_sgpr_private_segment_buffer 1
		.amdhsa_user_sgpr_dispatch_ptr 0
		.amdhsa_user_sgpr_queue_ptr 0
		.amdhsa_user_sgpr_kernarg_segment_ptr 1
		.amdhsa_user_sgpr_dispatch_id 0
		.amdhsa_user_sgpr_flat_scratch_init 0
		.amdhsa_user_sgpr_private_segment_size 0
		.amdhsa_uses_dynamic_stack 0
		.amdhsa_system_sgpr_private_segment_wavefront_offset 0
		.amdhsa_system_sgpr_workgroup_id_x 1
		.amdhsa_system_sgpr_workgroup_id_y 0
		.amdhsa_system_sgpr_workgroup_id_z 1
		.amdhsa_system_sgpr_workgroup_info 0
		.amdhsa_system_vgpr_workitem_id 0
		.amdhsa_next_free_vgpr 28
		.amdhsa_next_free_sgpr 26
		.amdhsa_reserve_vcc 1
		.amdhsa_reserve_flat_scratch 0
		.amdhsa_float_round_mode_32 0
		.amdhsa_float_round_mode_16_64 0
		.amdhsa_float_denorm_mode_32 3
		.amdhsa_float_denorm_mode_16_64 3
		.amdhsa_dx10_clamp 1
		.amdhsa_ieee_mode 1
		.amdhsa_fp16_overflow 0
		.amdhsa_exception_fp_ieee_invalid_op 0
		.amdhsa_exception_fp_denorm_src 0
		.amdhsa_exception_fp_ieee_div_zero 0
		.amdhsa_exception_fp_ieee_overflow 0
		.amdhsa_exception_fp_ieee_underflow 0
		.amdhsa_exception_fp_ieee_inexact 0
		.amdhsa_exception_int_div_zero 0
	.end_amdhsa_kernel
	.section	.text._ZN9rocsolver6v33100L18larfg_kernel_smallILi128E19rocblas_complex_numIdEidPKPS3_EEvT1_T3_llPT2_llS8_lS7_lPT0_l,"axG",@progbits,_ZN9rocsolver6v33100L18larfg_kernel_smallILi128E19rocblas_complex_numIdEidPKPS3_EEvT1_T3_llPT2_llS8_lS7_lPT0_l,comdat
.Lfunc_end6:
	.size	_ZN9rocsolver6v33100L18larfg_kernel_smallILi128E19rocblas_complex_numIdEidPKPS3_EEvT1_T3_llPT2_llS8_lS7_lPT0_l, .Lfunc_end6-_ZN9rocsolver6v33100L18larfg_kernel_smallILi128E19rocblas_complex_numIdEidPKPS3_EEvT1_T3_llPT2_llS8_lS7_lPT0_l
                                        ; -- End function
	.set _ZN9rocsolver6v33100L18larfg_kernel_smallILi128E19rocblas_complex_numIdEidPKPS3_EEvT1_T3_llPT2_llS8_lS7_lPT0_l.num_vgpr, 28
	.set _ZN9rocsolver6v33100L18larfg_kernel_smallILi128E19rocblas_complex_numIdEidPKPS3_EEvT1_T3_llPT2_llS8_lS7_lPT0_l.num_agpr, 0
	.set _ZN9rocsolver6v33100L18larfg_kernel_smallILi128E19rocblas_complex_numIdEidPKPS3_EEvT1_T3_llPT2_llS8_lS7_lPT0_l.numbered_sgpr, 26
	.set _ZN9rocsolver6v33100L18larfg_kernel_smallILi128E19rocblas_complex_numIdEidPKPS3_EEvT1_T3_llPT2_llS8_lS7_lPT0_l.num_named_barrier, 0
	.set _ZN9rocsolver6v33100L18larfg_kernel_smallILi128E19rocblas_complex_numIdEidPKPS3_EEvT1_T3_llPT2_llS8_lS7_lPT0_l.private_seg_size, 0
	.set _ZN9rocsolver6v33100L18larfg_kernel_smallILi128E19rocblas_complex_numIdEidPKPS3_EEvT1_T3_llPT2_llS8_lS7_lPT0_l.uses_vcc, 1
	.set _ZN9rocsolver6v33100L18larfg_kernel_smallILi128E19rocblas_complex_numIdEidPKPS3_EEvT1_T3_llPT2_llS8_lS7_lPT0_l.uses_flat_scratch, 0
	.set _ZN9rocsolver6v33100L18larfg_kernel_smallILi128E19rocblas_complex_numIdEidPKPS3_EEvT1_T3_llPT2_llS8_lS7_lPT0_l.has_dyn_sized_stack, 0
	.set _ZN9rocsolver6v33100L18larfg_kernel_smallILi128E19rocblas_complex_numIdEidPKPS3_EEvT1_T3_llPT2_llS8_lS7_lPT0_l.has_recursion, 0
	.set _ZN9rocsolver6v33100L18larfg_kernel_smallILi128E19rocblas_complex_numIdEidPKPS3_EEvT1_T3_llPT2_llS8_lS7_lPT0_l.has_indirect_call, 0
	.section	.AMDGPU.csdata,"",@progbits
; Kernel info:
; codeLenInByte = 2060
; TotalNumSgprs: 30
; NumVgprs: 28
; ScratchSize: 0
; MemoryBound: 0
; FloatMode: 240
; IeeeMode: 1
; LDSByteSize: 32 bytes/workgroup (compile time only)
; SGPRBlocks: 3
; VGPRBlocks: 6
; NumSGPRsForWavesPerEU: 30
; NumVGPRsForWavesPerEU: 28
; Occupancy: 9
; WaveLimiterHint : 1
; COMPUTE_PGM_RSRC2:SCRATCH_EN: 0
; COMPUTE_PGM_RSRC2:USER_SGPR: 6
; COMPUTE_PGM_RSRC2:TRAP_HANDLER: 0
; COMPUTE_PGM_RSRC2:TGID_X_EN: 1
; COMPUTE_PGM_RSRC2:TGID_Y_EN: 0
; COMPUTE_PGM_RSRC2:TGID_Z_EN: 1
; COMPUTE_PGM_RSRC2:TIDIG_COMP_CNT: 0
	.section	.text._ZN9rocsolver6v33100L18larfg_kernel_smallILi256E19rocblas_complex_numIdEidPKPS3_EEvT1_T3_llPT2_llS8_lS7_lPT0_l,"axG",@progbits,_ZN9rocsolver6v33100L18larfg_kernel_smallILi256E19rocblas_complex_numIdEidPKPS3_EEvT1_T3_llPT2_llS8_lS7_lPT0_l,comdat
	.globl	_ZN9rocsolver6v33100L18larfg_kernel_smallILi256E19rocblas_complex_numIdEidPKPS3_EEvT1_T3_llPT2_llS8_lS7_lPT0_l ; -- Begin function _ZN9rocsolver6v33100L18larfg_kernel_smallILi256E19rocblas_complex_numIdEidPKPS3_EEvT1_T3_llPT2_llS8_lS7_lPT0_l
	.p2align	8
	.type	_ZN9rocsolver6v33100L18larfg_kernel_smallILi256E19rocblas_complex_numIdEidPKPS3_EEvT1_T3_llPT2_llS8_lS7_lPT0_l,@function
_ZN9rocsolver6v33100L18larfg_kernel_smallILi256E19rocblas_complex_numIdEidPKPS3_EEvT1_T3_llPT2_llS8_lS7_lPT0_l: ; @_ZN9rocsolver6v33100L18larfg_kernel_smallILi256E19rocblas_complex_numIdEidPKPS3_EEvT1_T3_llPT2_llS8_lS7_lPT0_l
; %bb.0:
	s_load_dwordx4 s[0:3], s[4:5], 0x8
	s_load_dwordx8 s[8:15], s[4:5], 0x20
	s_load_dwordx2 s[18:19], s[4:5], 0x40
	s_mov_b32 s16, s7
	s_ashr_i32 s17, s7, 31
	s_lshl_b64 s[6:7], s[16:17], 3
	s_waitcnt lgkmcnt(0)
	s_add_u32 s0, s0, s6
	s_addc_u32 s1, s1, s7
	s_add_u32 s6, s14, s6
	s_addc_u32 s7, s15, s7
	s_load_dwordx2 s[14:15], s[6:7], 0x0
	s_cmp_eq_u64 s[8:9], 0
	s_mov_b64 s[6:7], 0
	s_cbranch_scc1 .LBB7_2
; %bb.1:
	s_mul_i32 s6, s12, s17
	s_mul_hi_u32 s7, s12, s16
	s_add_i32 s6, s7, s6
	s_mul_i32 s7, s13, s16
	s_add_i32 s7, s6, s7
	s_mul_i32 s6, s12, s16
	s_lshl_b64 s[6:7], s[6:7], 3
	s_add_u32 s8, s8, s6
	s_addc_u32 s9, s9, s7
	s_lshl_b64 s[6:7], s[10:11], 3
	s_add_u32 s6, s8, s6
	s_addc_u32 s7, s9, s7
.LBB7_2:
	s_load_dwordx2 s[10:11], s[0:1], 0x0
	s_load_dword s21, s[4:5], 0x0
	s_load_dword s22, s[4:5], 0x48
	s_lshl_b64 s[0:1], s[18:19], 4
	s_waitcnt lgkmcnt(0)
	s_add_u32 s20, s14, s0
	s_addc_u32 s23, s15, s1
	s_add_i32 s21, s21, -1
	v_mul_lo_u32 v7, v0, s22
	v_mov_b32_e32 v1, 0
	v_mov_b32_e32 v3, 0
	;; [unrolled: 1-line block ×4, first 2 shown]
	v_cmp_gt_i32_e64 s[0:1], s21, v0
	s_and_saveexec_b64 s[8:9], s[0:1]
	s_cbranch_execz .LBB7_6
; %bb.3:
	v_mul_lo_u32 v5, v0, s22
	v_mov_b32_e32 v1, 0
	v_mov_b32_e32 v3, 0
	s_lshl_b32 s14, s22, 8
	v_mov_b32_e32 v2, 0
	s_mov_b64 s[12:13], 0
	v_mov_b32_e32 v8, s23
	v_mov_b32_e32 v4, 0
	;; [unrolled: 1-line block ×3, first 2 shown]
.LBB7_4:                                ; =>This Inner Loop Header: Depth=1
	v_ashrrev_i32_e32 v6, 31, v5
	v_lshlrev_b64 v[10:11], 4, v[5:6]
	v_add_u32_e32 v9, 0x100, v9
	v_add_co_u32_e32 v10, vcc, s20, v10
	v_addc_co_u32_e32 v11, vcc, v8, v11, vcc
	flat_load_dwordx4 v[10:13], v[10:11]
	v_cmp_le_i32_e32 vcc, s21, v9
	s_or_b64 s[12:13], vcc, s[12:13]
	v_add_u32_e32 v5, s14, v5
	s_waitcnt vmcnt(0) lgkmcnt(0)
	v_mul_f64 v[14:15], v[12:13], v[12:13]
	v_mul_f64 v[16:17], v[10:11], v[12:13]
	v_fma_f64 v[14:15], v[10:11], v[10:11], v[14:15]
	v_fma_f64 v[10:11], v[10:11], v[12:13], -v[16:17]
	v_add_f64 v[3:4], v[3:4], v[14:15]
	v_add_f64 v[1:2], v[1:2], v[10:11]
	s_andn2_b64 exec, exec, s[12:13]
	s_cbranch_execnz .LBB7_4
; %bb.5:
	s_or_b64 exec, exec, s[12:13]
.LBB7_6:
	s_or_b64 exec, exec, s[8:9]
	v_mbcnt_lo_u32_b32 v5, -1, 0
	v_mbcnt_hi_u32_b32 v10, -1, v5
	v_and_b32_e32 v11, 63, v10
	v_cmp_ne_u32_e32 vcc, 63, v11
	v_addc_co_u32_e32 v5, vcc, 0, v10, vcc
	v_lshlrev_b32_e32 v9, 2, v5
	ds_bpermute_b32 v5, v9, v3
	ds_bpermute_b32 v6, v9, v4
	ds_bpermute_b32 v8, v9, v1
	ds_bpermute_b32 v9, v9, v2
	v_cmp_gt_u32_e32 vcc, 62, v11
	s_waitcnt lgkmcnt(2)
	v_add_f64 v[3:4], v[3:4], v[5:6]
	v_cndmask_b32_e64 v5, 0, 2, vcc
	s_waitcnt lgkmcnt(0)
	v_add_f64 v[1:2], v[1:2], v[8:9]
	v_add_lshl_u32 v9, v5, v10, 2
	v_cmp_gt_u32_e32 vcc, 60, v11
	ds_bpermute_b32 v5, v9, v3
	ds_bpermute_b32 v6, v9, v4
	ds_bpermute_b32 v8, v9, v1
	ds_bpermute_b32 v9, v9, v2
	s_waitcnt lgkmcnt(2)
	v_add_f64 v[3:4], v[3:4], v[5:6]
	v_cndmask_b32_e64 v5, 0, 4, vcc
	s_waitcnt lgkmcnt(0)
	v_add_f64 v[1:2], v[1:2], v[8:9]
	v_add_lshl_u32 v9, v5, v10, 2
	v_cmp_gt_u32_e32 vcc, 56, v11
	ds_bpermute_b32 v5, v9, v3
	ds_bpermute_b32 v6, v9, v4
	ds_bpermute_b32 v8, v9, v1
	ds_bpermute_b32 v9, v9, v2
	;; [unrolled: 11-line block ×3, first 2 shown]
	s_waitcnt lgkmcnt(2)
	v_add_f64 v[3:4], v[3:4], v[5:6]
	v_cndmask_b32_e64 v5, 0, 16, vcc
	s_waitcnt lgkmcnt(0)
	v_add_f64 v[1:2], v[1:2], v[8:9]
	v_add_lshl_u32 v9, v5, v10, 2
	ds_bpermute_b32 v5, v9, v3
	ds_bpermute_b32 v6, v9, v4
	;; [unrolled: 1-line block ×4, first 2 shown]
	s_waitcnt lgkmcnt(2)
	v_add_f64 v[3:4], v[3:4], v[5:6]
	s_waitcnt lgkmcnt(0)
	v_add_f64 v[5:6], v[1:2], v[8:9]
	v_mov_b32_e32 v1, 0x80
	v_lshl_or_b32 v9, v10, 2, v1
	ds_bpermute_b32 v1, v9, v3
	ds_bpermute_b32 v2, v9, v4
	ds_bpermute_b32 v8, v9, v5
	ds_bpermute_b32 v9, v9, v6
	s_waitcnt lgkmcnt(2)
	v_add_f64 v[1:2], v[3:4], v[1:2]
	s_waitcnt lgkmcnt(0)
	v_add_f64 v[3:4], v[5:6], v[8:9]
	v_and_b32_e32 v5, 63, v0
	v_cmp_eq_u32_e32 vcc, 0, v5
	s_and_saveexec_b64 s[8:9], vcc
; %bb.7:
	v_lshrrev_b32_e32 v5, 2, v0
	ds_write_b128 v5, v[1:4]
; %bb.8:
	s_or_b64 exec, exec, s[8:9]
	v_cmp_eq_u32_e32 vcc, 0, v0
	s_waitcnt lgkmcnt(0)
	s_barrier
	s_and_saveexec_b64 s[8:9], vcc
	s_cbranch_execz .LBB7_10
; %bb.9:
	v_mov_b32_e32 v16, 0
	ds_read_b128 v[8:11], v16 offset:16
	ds_read_b128 v[12:15], v16 offset:32
	s_waitcnt lgkmcnt(1)
	v_add_f64 v[1:2], v[1:2], v[8:9]
	v_add_f64 v[3:4], v[3:4], v[10:11]
	s_waitcnt lgkmcnt(0)
	v_add_f64 v[5:6], v[1:2], v[12:13]
	v_add_f64 v[8:9], v[3:4], v[14:15]
	ds_read_b128 v[1:4], v16 offset:48
	s_waitcnt lgkmcnt(0)
	v_add_f64 v[1:2], v[5:6], v[1:2]
	v_add_f64 v[3:4], v[8:9], v[3:4]
	ds_write_b128 v16, v[1:4]
.LBB7_10:
	s_or_b64 exec, exec, s[8:9]
	s_waitcnt lgkmcnt(0)
	s_barrier
	s_and_saveexec_b64 s[8:9], vcc
	s_cbranch_execz .LBB7_18
; %bb.11:
	s_lshl_b64 s[2:3], s[2:3], 4
	s_add_u32 s10, s10, s2
	s_addc_u32 s11, s11, s3
	v_mov_b32_e32 v1, s10
	v_mov_b32_e32 v2, s11
	flat_load_dwordx2 v[4:5], v[1:2] offset:8
	v_mov_b32_e32 v3, 0
	ds_read_b64 v[10:11], v3
	s_load_dwordx4 s[12:15], s[4:5], 0x58
	s_waitcnt lgkmcnt(0)
	v_max_f64 v[1:2], v[10:11], v[10:11]
	s_mul_i32 s2, s14, s17
	s_mul_hi_u32 s3, s14, s16
	s_add_i32 s2, s3, s2
	s_mul_i32 s3, s15, s16
	s_add_i32 s3, s2, s3
	s_mul_i32 s2, s14, s16
	s_lshl_b64 s[2:3], s[2:3], 4
	s_add_u32 s4, s12, s2
	s_addc_u32 s5, s13, s3
	s_cmp_eq_u64 s[6:7], 0
	s_cselect_b64 s[14:15], -1, 0
	s_cmp_lg_u64 s[6:7], 0
	s_mov_b64 s[2:3], 0
	s_cselect_b64 s[12:13], -1, 0
	s_mov_b64 s[16:17], 0
	s_waitcnt vmcnt(0)
	v_mul_f64 v[8:9], v[4:5], v[4:5]
	v_max_f64 v[1:2], v[1:2], v[8:9]
	v_cmp_nlt_f64_e32 vcc, 0, v[1:2]
                                        ; implicit-def: $vgpr1_vgpr2
	s_and_saveexec_b64 s[18:19], vcc
	s_xor_b64 s[18:19], exec, s[18:19]
	s_cbranch_execz .LBB7_14
; %bb.12:
	v_mov_b32_e32 v4, 0x3ff00000
	v_mov_b32_e32 v5, v3
	;; [unrolled: 1-line block ×3, first 2 shown]
	ds_write_b128 v3, v[3:6]
	v_mov_b32_e32 v4, v3
	s_and_b64 vcc, exec, s[12:13]
	global_store_dwordx4 v3, v[3:6], s[4:5]
	s_cbranch_vccz .LBB7_22
; %bb.13:
	v_mov_b32_e32 v1, s10
	v_mov_b32_e32 v2, s11
	flat_load_dwordx2 v[1:2], v[1:2]
	s_mov_b64 s[16:17], -1
	s_and_b64 s[16:17], s[16:17], exec
                                        ; implicit-def: $vgpr8_vgpr9
                                        ; implicit-def: $vgpr10_vgpr11
                                        ; implicit-def: $vgpr4_vgpr5
	s_andn2_saveexec_b64 s[18:19], s[18:19]
	s_cbranch_execz .LBB7_23
	s_branch .LBB7_15
.LBB7_14:
	s_andn2_saveexec_b64 s[18:19], s[18:19]
	s_cbranch_execz .LBB7_23
.LBB7_15:
	s_waitcnt vmcnt(0) lgkmcnt(0)
	v_mov_b32_e32 v1, s10
	v_mov_b32_e32 v2, s11
	flat_load_dwordx2 v[12:13], v[1:2]
	s_mov_b32 s2, 0
	s_brev_b32 s3, 8
	v_mov_b32_e32 v3, 0x100
	v_mov_b32_e32 v6, 0x260
	s_and_b64 s[12:13], s[12:13], exec
	s_waitcnt vmcnt(0) lgkmcnt(0)
	v_fma_f64 v[1:2], v[12:13], v[12:13], v[8:9]
	v_add_f64 v[1:2], v[10:11], v[1:2]
	v_cmp_gt_f64_e32 vcc, s[2:3], v[1:2]
	v_cndmask_b32_e32 v3, 0, v3, vcc
	v_ldexp_f64 v[1:2], v[1:2], v3
	v_mov_b32_e32 v3, 0xffffff80
	v_cndmask_b32_e32 v3, 0, v3, vcc
	v_rsq_f64_e32 v[10:11], v[1:2]
	v_cmp_class_f64_e32 vcc, v[1:2], v6
	v_mul_f64 v[14:15], v[1:2], v[10:11]
	v_mul_f64 v[10:11], v[10:11], 0.5
	v_fma_f64 v[16:17], -v[10:11], v[14:15], 0.5
	v_fma_f64 v[14:15], v[14:15], v[16:17], v[14:15]
	v_fma_f64 v[10:11], v[10:11], v[16:17], v[10:11]
	v_fma_f64 v[16:17], -v[14:15], v[14:15], v[1:2]
	v_fma_f64 v[14:15], v[16:17], v[10:11], v[14:15]
	v_fma_f64 v[16:17], -v[14:15], v[14:15], v[1:2]
	v_fma_f64 v[10:11], v[16:17], v[10:11], v[14:15]
	v_ldexp_f64 v[10:11], v[10:11], v3
	v_cndmask_b32_e32 v2, v11, v2, vcc
	v_cndmask_b32_e32 v1, v10, v1, vcc
	v_cmp_le_f64_e32 vcc, 0, v[12:13]
	v_xor_b32_e32 v3, 0x80000000, v2
	v_cndmask_b32_e32 v2, v2, v3, vcc
	v_add_f64 v[10:11], v[12:13], -v[1:2]
	v_add_f64 v[12:13], v[1:2], -v[12:13]
	v_mov_b32_e32 v3, 0
	v_fma_f64 v[14:15], v[10:11], v[10:11], v[8:9]
	v_div_scale_f64 v[8:9], s[2:3], v[14:15], v[14:15], v[10:11]
	v_div_scale_f64 v[16:17], s[2:3], v[14:15], v[14:15], -v[4:5]
	v_rcp_f64_e32 v[18:19], v[8:9]
	v_rcp_f64_e32 v[20:21], v[16:17]
	v_fma_f64 v[22:23], -v[8:9], v[18:19], 1.0
	v_fma_f64 v[24:25], -v[16:17], v[20:21], 1.0
	v_fma_f64 v[18:19], v[18:19], v[22:23], v[18:19]
	v_fma_f64 v[20:21], v[20:21], v[24:25], v[20:21]
	v_div_scale_f64 v[24:25], vcc, v[10:11], v[14:15], v[10:11]
	v_fma_f64 v[22:23], -v[8:9], v[18:19], 1.0
	v_fma_f64 v[18:19], v[18:19], v[22:23], v[18:19]
	v_fma_f64 v[22:23], -v[16:17], v[20:21], 1.0
	v_fma_f64 v[20:21], v[20:21], v[22:23], v[20:21]
	v_mul_f64 v[22:23], v[24:25], v[18:19]
	v_fma_f64 v[8:9], -v[8:9], v[22:23], v[24:25]
	v_div_scale_f64 v[24:25], s[2:3], -v[4:5], v[14:15], -v[4:5]
	v_div_fmas_f64 v[8:9], v[8:9], v[18:19], v[22:23]
	v_div_scale_f64 v[18:19], s[24:25], v[1:2], v[1:2], v[12:13]
	s_mov_b64 vcc, s[2:3]
	v_mul_f64 v[22:23], v[24:25], v[20:21]
	v_div_fixup_f64 v[8:9], v[8:9], v[14:15], v[10:11]
	v_fma_f64 v[16:17], -v[16:17], v[22:23], v[24:25]
	v_rcp_f64_e32 v[24:25], v[18:19]
	v_div_fmas_f64 v[16:17], v[16:17], v[20:21], v[22:23]
	v_div_scale_f64 v[20:21], vcc, v[12:13], v[1:2], v[12:13]
	v_fma_f64 v[26:27], -v[18:19], v[24:25], 1.0
	v_div_fixup_f64 v[10:11], v[16:17], v[14:15], -v[4:5]
	v_fma_f64 v[24:25], v[24:25], v[26:27], v[24:25]
	ds_write_b128 v3, v[8:11]
	v_fma_f64 v[22:23], -v[18:19], v[24:25], 1.0
	v_fma_f64 v[22:23], v[24:25], v[22:23], v[24:25]
	v_mul_f64 v[24:25], v[20:21], v[22:23]
	v_fma_f64 v[18:19], -v[18:19], v[24:25], v[20:21]
	v_div_scale_f64 v[20:21], s[2:3], v[1:2], v[1:2], -v[4:5]
	s_and_b64 s[2:3], s[14:15], exec
	s_andn2_b64 s[14:15], s[16:17], exec
	s_or_b64 s[16:17], s[14:15], s[12:13]
	v_div_fmas_f64 v[18:19], v[18:19], v[22:23], v[24:25]
	v_rcp_f64_e32 v[22:23], v[20:21]
	v_div_fixup_f64 v[12:13], v[18:19], v[1:2], v[12:13]
	v_fma_f64 v[24:25], -v[20:21], v[22:23], 1.0
	v_fma_f64 v[22:23], v[22:23], v[24:25], v[22:23]
	v_fma_f64 v[24:25], -v[20:21], v[22:23], 1.0
	v_fma_f64 v[22:23], v[22:23], v[24:25], v[22:23]
	v_div_scale_f64 v[24:25], vcc, -v[4:5], v[1:2], -v[4:5]
	v_mul_f64 v[26:27], v[24:25], v[22:23]
	v_fma_f64 v[20:21], -v[20:21], v[26:27], v[24:25]
	s_nop 1
	v_div_fmas_f64 v[20:21], v[20:21], v[22:23], v[26:27]
	v_div_fixup_f64 v[14:15], v[20:21], v[1:2], -v[4:5]
	global_store_dwordx4 v3, v[12:15], s[4:5]
	s_or_b64 exec, exec, s[18:19]
	s_and_saveexec_b64 s[4:5], s[16:17]
	s_cbranch_execnz .LBB7_24
.LBB7_16:
	s_or_b64 exec, exec, s[4:5]
	s_and_b64 exec, exec, s[2:3]
	s_cbranch_execz .LBB7_18
.LBB7_17:
	v_mov_b32_e32 v3, 0
	v_mov_b32_e32 v5, s10
	;; [unrolled: 1-line block ×4, first 2 shown]
	s_waitcnt vmcnt(0) lgkmcnt(0)
	flat_store_dwordx4 v[5:6], v[1:4]
.LBB7_18:
	s_or_b64 exec, exec, s[8:9]
	s_waitcnt vmcnt(0) lgkmcnt(0)
	s_barrier
	s_and_saveexec_b64 s[2:3], s[0:1]
	s_cbranch_execz .LBB7_21
; %bb.19:
	v_mov_b32_e32 v1, 0
	ds_read_b128 v[1:4], v1
	s_lshl_b32 s2, s22, 8
	s_mov_b64 s[0:1], 0
	v_mov_b32_e32 v5, s23
.LBB7_20:                               ; =>This Inner Loop Header: Depth=1
	v_ashrrev_i32_e32 v8, 31, v7
	v_lshlrev_b64 v[8:9], 4, v[7:8]
	v_add_u32_e32 v0, 0x100, v0
	v_add_co_u32_e32 v14, vcc, s20, v8
	v_addc_co_u32_e32 v15, vcc, v5, v9, vcc
	flat_load_dwordx4 v[8:11], v[14:15]
	v_cmp_le_i32_e32 vcc, s21, v0
	s_or_b64 s[0:1], vcc, s[0:1]
	v_add_u32_e32 v7, s2, v7
	s_waitcnt vmcnt(0) lgkmcnt(0)
	v_mul_f64 v[12:13], v[3:4], v[10:11]
	v_mul_f64 v[16:17], v[1:2], v[10:11]
	v_fma_f64 v[10:11], v[1:2], v[8:9], -v[12:13]
	v_fma_f64 v[12:13], v[3:4], v[8:9], v[16:17]
	flat_store_dwordx4 v[14:15], v[10:13]
	s_andn2_b64 exec, exec, s[0:1]
	s_cbranch_execnz .LBB7_20
.LBB7_21:
	s_endpgm
.LBB7_22:
                                        ; implicit-def: $vgpr1_vgpr2
	s_and_b64 s[16:17], s[16:17], exec
                                        ; implicit-def: $vgpr8_vgpr9
                                        ; implicit-def: $vgpr10_vgpr11
                                        ; implicit-def: $vgpr4_vgpr5
	s_andn2_saveexec_b64 s[18:19], s[18:19]
	s_cbranch_execnz .LBB7_15
.LBB7_23:
	s_or_b64 exec, exec, s[18:19]
	s_and_saveexec_b64 s[4:5], s[16:17]
	s_cbranch_execz .LBB7_16
.LBB7_24:
	v_mov_b32_e32 v3, 0
	s_waitcnt vmcnt(0) lgkmcnt(0)
	global_store_dwordx2 v3, v[1:2], s[6:7]
	v_mov_b32_e32 v1, 0
	v_mov_b32_e32 v2, 0x3ff00000
	s_or_b64 s[2:3], s[2:3], exec
	s_or_b64 exec, exec, s[4:5]
	s_and_b64 exec, exec, s[2:3]
	s_cbranch_execnz .LBB7_17
	s_branch .LBB7_18
	.section	.rodata,"a",@progbits
	.p2align	6, 0x0
	.amdhsa_kernel _ZN9rocsolver6v33100L18larfg_kernel_smallILi256E19rocblas_complex_numIdEidPKPS3_EEvT1_T3_llPT2_llS8_lS7_lPT0_l
		.amdhsa_group_segment_fixed_size 64
		.amdhsa_private_segment_fixed_size 0
		.amdhsa_kernarg_size 104
		.amdhsa_user_sgpr_count 6
		.amdhsa_user_sgpr_private_segment_buffer 1
		.amdhsa_user_sgpr_dispatch_ptr 0
		.amdhsa_user_sgpr_queue_ptr 0
		.amdhsa_user_sgpr_kernarg_segment_ptr 1
		.amdhsa_user_sgpr_dispatch_id 0
		.amdhsa_user_sgpr_flat_scratch_init 0
		.amdhsa_user_sgpr_private_segment_size 0
		.amdhsa_uses_dynamic_stack 0
		.amdhsa_system_sgpr_private_segment_wavefront_offset 0
		.amdhsa_system_sgpr_workgroup_id_x 1
		.amdhsa_system_sgpr_workgroup_id_y 0
		.amdhsa_system_sgpr_workgroup_id_z 1
		.amdhsa_system_sgpr_workgroup_info 0
		.amdhsa_system_vgpr_workitem_id 0
		.amdhsa_next_free_vgpr 28
		.amdhsa_next_free_sgpr 26
		.amdhsa_reserve_vcc 1
		.amdhsa_reserve_flat_scratch 0
		.amdhsa_float_round_mode_32 0
		.amdhsa_float_round_mode_16_64 0
		.amdhsa_float_denorm_mode_32 3
		.amdhsa_float_denorm_mode_16_64 3
		.amdhsa_dx10_clamp 1
		.amdhsa_ieee_mode 1
		.amdhsa_fp16_overflow 0
		.amdhsa_exception_fp_ieee_invalid_op 0
		.amdhsa_exception_fp_denorm_src 0
		.amdhsa_exception_fp_ieee_div_zero 0
		.amdhsa_exception_fp_ieee_overflow 0
		.amdhsa_exception_fp_ieee_underflow 0
		.amdhsa_exception_fp_ieee_inexact 0
		.amdhsa_exception_int_div_zero 0
	.end_amdhsa_kernel
	.section	.text._ZN9rocsolver6v33100L18larfg_kernel_smallILi256E19rocblas_complex_numIdEidPKPS3_EEvT1_T3_llPT2_llS8_lS7_lPT0_l,"axG",@progbits,_ZN9rocsolver6v33100L18larfg_kernel_smallILi256E19rocblas_complex_numIdEidPKPS3_EEvT1_T3_llPT2_llS8_lS7_lPT0_l,comdat
.Lfunc_end7:
	.size	_ZN9rocsolver6v33100L18larfg_kernel_smallILi256E19rocblas_complex_numIdEidPKPS3_EEvT1_T3_llPT2_llS8_lS7_lPT0_l, .Lfunc_end7-_ZN9rocsolver6v33100L18larfg_kernel_smallILi256E19rocblas_complex_numIdEidPKPS3_EEvT1_T3_llPT2_llS8_lS7_lPT0_l
                                        ; -- End function
	.set _ZN9rocsolver6v33100L18larfg_kernel_smallILi256E19rocblas_complex_numIdEidPKPS3_EEvT1_T3_llPT2_llS8_lS7_lPT0_l.num_vgpr, 28
	.set _ZN9rocsolver6v33100L18larfg_kernel_smallILi256E19rocblas_complex_numIdEidPKPS3_EEvT1_T3_llPT2_llS8_lS7_lPT0_l.num_agpr, 0
	.set _ZN9rocsolver6v33100L18larfg_kernel_smallILi256E19rocblas_complex_numIdEidPKPS3_EEvT1_T3_llPT2_llS8_lS7_lPT0_l.numbered_sgpr, 26
	.set _ZN9rocsolver6v33100L18larfg_kernel_smallILi256E19rocblas_complex_numIdEidPKPS3_EEvT1_T3_llPT2_llS8_lS7_lPT0_l.num_named_barrier, 0
	.set _ZN9rocsolver6v33100L18larfg_kernel_smallILi256E19rocblas_complex_numIdEidPKPS3_EEvT1_T3_llPT2_llS8_lS7_lPT0_l.private_seg_size, 0
	.set _ZN9rocsolver6v33100L18larfg_kernel_smallILi256E19rocblas_complex_numIdEidPKPS3_EEvT1_T3_llPT2_llS8_lS7_lPT0_l.uses_vcc, 1
	.set _ZN9rocsolver6v33100L18larfg_kernel_smallILi256E19rocblas_complex_numIdEidPKPS3_EEvT1_T3_llPT2_llS8_lS7_lPT0_l.uses_flat_scratch, 0
	.set _ZN9rocsolver6v33100L18larfg_kernel_smallILi256E19rocblas_complex_numIdEidPKPS3_EEvT1_T3_llPT2_llS8_lS7_lPT0_l.has_dyn_sized_stack, 0
	.set _ZN9rocsolver6v33100L18larfg_kernel_smallILi256E19rocblas_complex_numIdEidPKPS3_EEvT1_T3_llPT2_llS8_lS7_lPT0_l.has_recursion, 0
	.set _ZN9rocsolver6v33100L18larfg_kernel_smallILi256E19rocblas_complex_numIdEidPKPS3_EEvT1_T3_llPT2_llS8_lS7_lPT0_l.has_indirect_call, 0
	.section	.AMDGPU.csdata,"",@progbits
; Kernel info:
; codeLenInByte = 2116
; TotalNumSgprs: 30
; NumVgprs: 28
; ScratchSize: 0
; MemoryBound: 0
; FloatMode: 240
; IeeeMode: 1
; LDSByteSize: 64 bytes/workgroup (compile time only)
; SGPRBlocks: 3
; VGPRBlocks: 6
; NumSGPRsForWavesPerEU: 30
; NumVGPRsForWavesPerEU: 28
; Occupancy: 9
; WaveLimiterHint : 1
; COMPUTE_PGM_RSRC2:SCRATCH_EN: 0
; COMPUTE_PGM_RSRC2:USER_SGPR: 6
; COMPUTE_PGM_RSRC2:TRAP_HANDLER: 0
; COMPUTE_PGM_RSRC2:TGID_X_EN: 1
; COMPUTE_PGM_RSRC2:TGID_Y_EN: 0
; COMPUTE_PGM_RSRC2:TGID_Z_EN: 1
; COMPUTE_PGM_RSRC2:TIDIG_COMP_CNT: 0
	.section	.text._ZN9rocsolver6v33100L18larfg_kernel_smallILi512E19rocblas_complex_numIdEidPKPS3_EEvT1_T3_llPT2_llS8_lS7_lPT0_l,"axG",@progbits,_ZN9rocsolver6v33100L18larfg_kernel_smallILi512E19rocblas_complex_numIdEidPKPS3_EEvT1_T3_llPT2_llS8_lS7_lPT0_l,comdat
	.globl	_ZN9rocsolver6v33100L18larfg_kernel_smallILi512E19rocblas_complex_numIdEidPKPS3_EEvT1_T3_llPT2_llS8_lS7_lPT0_l ; -- Begin function _ZN9rocsolver6v33100L18larfg_kernel_smallILi512E19rocblas_complex_numIdEidPKPS3_EEvT1_T3_llPT2_llS8_lS7_lPT0_l
	.p2align	8
	.type	_ZN9rocsolver6v33100L18larfg_kernel_smallILi512E19rocblas_complex_numIdEidPKPS3_EEvT1_T3_llPT2_llS8_lS7_lPT0_l,@function
_ZN9rocsolver6v33100L18larfg_kernel_smallILi512E19rocblas_complex_numIdEidPKPS3_EEvT1_T3_llPT2_llS8_lS7_lPT0_l: ; @_ZN9rocsolver6v33100L18larfg_kernel_smallILi512E19rocblas_complex_numIdEidPKPS3_EEvT1_T3_llPT2_llS8_lS7_lPT0_l
; %bb.0:
	s_load_dwordx4 s[0:3], s[4:5], 0x8
	s_load_dwordx8 s[8:15], s[4:5], 0x20
	s_load_dwordx2 s[18:19], s[4:5], 0x40
	s_mov_b32 s16, s7
	s_ashr_i32 s17, s7, 31
	s_lshl_b64 s[6:7], s[16:17], 3
	s_waitcnt lgkmcnt(0)
	s_add_u32 s0, s0, s6
	s_addc_u32 s1, s1, s7
	s_add_u32 s6, s14, s6
	s_addc_u32 s7, s15, s7
	s_load_dwordx2 s[14:15], s[6:7], 0x0
	s_cmp_eq_u64 s[8:9], 0
	s_mov_b64 s[6:7], 0
	s_cbranch_scc1 .LBB8_2
; %bb.1:
	s_mul_i32 s6, s12, s17
	s_mul_hi_u32 s7, s12, s16
	s_add_i32 s6, s7, s6
	s_mul_i32 s7, s13, s16
	s_add_i32 s7, s6, s7
	s_mul_i32 s6, s12, s16
	s_lshl_b64 s[6:7], s[6:7], 3
	s_add_u32 s8, s8, s6
	s_addc_u32 s9, s9, s7
	s_lshl_b64 s[6:7], s[10:11], 3
	s_add_u32 s6, s8, s6
	s_addc_u32 s7, s9, s7
.LBB8_2:
	s_load_dwordx2 s[10:11], s[0:1], 0x0
	s_load_dword s21, s[4:5], 0x0
	s_load_dword s22, s[4:5], 0x48
	s_lshl_b64 s[0:1], s[18:19], 4
	s_waitcnt lgkmcnt(0)
	s_add_u32 s20, s14, s0
	s_addc_u32 s23, s15, s1
	s_add_i32 s21, s21, -1
	v_mul_lo_u32 v7, v0, s22
	v_mov_b32_e32 v1, 0
	v_mov_b32_e32 v3, 0
	;; [unrolled: 1-line block ×4, first 2 shown]
	v_cmp_gt_i32_e64 s[0:1], s21, v0
	s_and_saveexec_b64 s[8:9], s[0:1]
	s_cbranch_execz .LBB8_6
; %bb.3:
	v_mul_lo_u32 v5, v0, s22
	v_mov_b32_e32 v1, 0
	v_mov_b32_e32 v3, 0
	s_lshl_b32 s14, s22, 9
	v_mov_b32_e32 v2, 0
	s_mov_b64 s[12:13], 0
	v_mov_b32_e32 v8, s23
	v_mov_b32_e32 v4, 0
	;; [unrolled: 1-line block ×3, first 2 shown]
.LBB8_4:                                ; =>This Inner Loop Header: Depth=1
	v_ashrrev_i32_e32 v6, 31, v5
	v_lshlrev_b64 v[10:11], 4, v[5:6]
	v_add_u32_e32 v9, 0x200, v9
	v_add_co_u32_e32 v10, vcc, s20, v10
	v_addc_co_u32_e32 v11, vcc, v8, v11, vcc
	flat_load_dwordx4 v[10:13], v[10:11]
	v_cmp_le_i32_e32 vcc, s21, v9
	s_or_b64 s[12:13], vcc, s[12:13]
	v_add_u32_e32 v5, s14, v5
	s_waitcnt vmcnt(0) lgkmcnt(0)
	v_mul_f64 v[14:15], v[12:13], v[12:13]
	v_mul_f64 v[16:17], v[10:11], v[12:13]
	v_fma_f64 v[14:15], v[10:11], v[10:11], v[14:15]
	v_fma_f64 v[10:11], v[10:11], v[12:13], -v[16:17]
	v_add_f64 v[3:4], v[3:4], v[14:15]
	v_add_f64 v[1:2], v[1:2], v[10:11]
	s_andn2_b64 exec, exec, s[12:13]
	s_cbranch_execnz .LBB8_4
; %bb.5:
	s_or_b64 exec, exec, s[12:13]
.LBB8_6:
	s_or_b64 exec, exec, s[8:9]
	v_mbcnt_lo_u32_b32 v5, -1, 0
	v_mbcnt_hi_u32_b32 v10, -1, v5
	v_and_b32_e32 v11, 63, v10
	v_cmp_ne_u32_e32 vcc, 63, v11
	v_addc_co_u32_e32 v5, vcc, 0, v10, vcc
	v_lshlrev_b32_e32 v9, 2, v5
	ds_bpermute_b32 v5, v9, v3
	ds_bpermute_b32 v6, v9, v4
	;; [unrolled: 1-line block ×4, first 2 shown]
	v_cmp_gt_u32_e32 vcc, 62, v11
	s_waitcnt lgkmcnt(2)
	v_add_f64 v[3:4], v[3:4], v[5:6]
	v_cndmask_b32_e64 v5, 0, 2, vcc
	s_waitcnt lgkmcnt(0)
	v_add_f64 v[1:2], v[1:2], v[8:9]
	v_add_lshl_u32 v9, v5, v10, 2
	v_cmp_gt_u32_e32 vcc, 60, v11
	ds_bpermute_b32 v5, v9, v3
	ds_bpermute_b32 v6, v9, v4
	ds_bpermute_b32 v8, v9, v1
	ds_bpermute_b32 v9, v9, v2
	s_waitcnt lgkmcnt(2)
	v_add_f64 v[3:4], v[3:4], v[5:6]
	v_cndmask_b32_e64 v5, 0, 4, vcc
	s_waitcnt lgkmcnt(0)
	v_add_f64 v[1:2], v[1:2], v[8:9]
	v_add_lshl_u32 v9, v5, v10, 2
	v_cmp_gt_u32_e32 vcc, 56, v11
	ds_bpermute_b32 v5, v9, v3
	ds_bpermute_b32 v6, v9, v4
	ds_bpermute_b32 v8, v9, v1
	ds_bpermute_b32 v9, v9, v2
	;; [unrolled: 11-line block ×3, first 2 shown]
	s_waitcnt lgkmcnt(2)
	v_add_f64 v[3:4], v[3:4], v[5:6]
	v_cndmask_b32_e64 v5, 0, 16, vcc
	s_waitcnt lgkmcnt(0)
	v_add_f64 v[1:2], v[1:2], v[8:9]
	v_add_lshl_u32 v9, v5, v10, 2
	ds_bpermute_b32 v5, v9, v3
	ds_bpermute_b32 v6, v9, v4
	;; [unrolled: 1-line block ×4, first 2 shown]
	s_waitcnt lgkmcnt(2)
	v_add_f64 v[3:4], v[3:4], v[5:6]
	s_waitcnt lgkmcnt(0)
	v_add_f64 v[5:6], v[1:2], v[8:9]
	v_mov_b32_e32 v1, 0x80
	v_lshl_or_b32 v9, v10, 2, v1
	ds_bpermute_b32 v1, v9, v3
	ds_bpermute_b32 v2, v9, v4
	ds_bpermute_b32 v8, v9, v5
	ds_bpermute_b32 v9, v9, v6
	s_waitcnt lgkmcnt(2)
	v_add_f64 v[1:2], v[3:4], v[1:2]
	s_waitcnt lgkmcnt(0)
	v_add_f64 v[3:4], v[5:6], v[8:9]
	v_and_b32_e32 v5, 63, v0
	v_cmp_eq_u32_e32 vcc, 0, v5
	s_and_saveexec_b64 s[8:9], vcc
; %bb.7:
	v_lshrrev_b32_e32 v5, 2, v0
	ds_write_b128 v5, v[1:4]
; %bb.8:
	s_or_b64 exec, exec, s[8:9]
	v_cmp_eq_u32_e32 vcc, 0, v0
	s_waitcnt lgkmcnt(0)
	s_barrier
	s_and_saveexec_b64 s[8:9], vcc
	s_cbranch_execz .LBB8_10
; %bb.9:
	v_mov_b32_e32 v16, 0
	ds_read_b128 v[8:11], v16 offset:16
	ds_read_b128 v[12:15], v16 offset:32
	s_waitcnt lgkmcnt(1)
	v_add_f64 v[1:2], v[1:2], v[8:9]
	v_add_f64 v[3:4], v[3:4], v[10:11]
	s_waitcnt lgkmcnt(0)
	v_add_f64 v[5:6], v[1:2], v[12:13]
	v_add_f64 v[12:13], v[3:4], v[14:15]
	ds_read_b128 v[1:4], v16 offset:48
	ds_read_b128 v[8:11], v16 offset:64
	s_waitcnt lgkmcnt(1)
	v_add_f64 v[1:2], v[5:6], v[1:2]
	v_add_f64 v[3:4], v[12:13], v[3:4]
	s_waitcnt lgkmcnt(0)
	v_add_f64 v[5:6], v[1:2], v[8:9]
	v_add_f64 v[12:13], v[3:4], v[10:11]
	;; [unrolled: 8-line block ×3, first 2 shown]
	ds_read_b128 v[1:4], v16 offset:112
	s_waitcnt lgkmcnt(0)
	v_add_f64 v[1:2], v[5:6], v[1:2]
	v_add_f64 v[3:4], v[8:9], v[3:4]
	ds_write_b128 v16, v[1:4]
.LBB8_10:
	s_or_b64 exec, exec, s[8:9]
	s_waitcnt lgkmcnt(0)
	s_barrier
	s_and_saveexec_b64 s[8:9], vcc
	s_cbranch_execz .LBB8_18
; %bb.11:
	s_lshl_b64 s[2:3], s[2:3], 4
	s_add_u32 s10, s10, s2
	s_addc_u32 s11, s11, s3
	v_mov_b32_e32 v1, s10
	v_mov_b32_e32 v2, s11
	flat_load_dwordx2 v[4:5], v[1:2] offset:8
	v_mov_b32_e32 v3, 0
	ds_read_b64 v[10:11], v3
	s_load_dwordx4 s[12:15], s[4:5], 0x58
	s_waitcnt lgkmcnt(0)
	v_max_f64 v[1:2], v[10:11], v[10:11]
	s_mul_i32 s2, s14, s17
	s_mul_hi_u32 s3, s14, s16
	s_add_i32 s2, s3, s2
	s_mul_i32 s3, s15, s16
	s_add_i32 s3, s2, s3
	s_mul_i32 s2, s14, s16
	s_lshl_b64 s[2:3], s[2:3], 4
	s_add_u32 s4, s12, s2
	s_addc_u32 s5, s13, s3
	s_cmp_eq_u64 s[6:7], 0
	s_cselect_b64 s[14:15], -1, 0
	s_cmp_lg_u64 s[6:7], 0
	s_mov_b64 s[2:3], 0
	s_cselect_b64 s[12:13], -1, 0
	s_mov_b64 s[16:17], 0
	s_waitcnt vmcnt(0)
	v_mul_f64 v[8:9], v[4:5], v[4:5]
	v_max_f64 v[1:2], v[1:2], v[8:9]
	v_cmp_nlt_f64_e32 vcc, 0, v[1:2]
                                        ; implicit-def: $vgpr1_vgpr2
	s_and_saveexec_b64 s[18:19], vcc
	s_xor_b64 s[18:19], exec, s[18:19]
	s_cbranch_execz .LBB8_14
; %bb.12:
	v_mov_b32_e32 v4, 0x3ff00000
	v_mov_b32_e32 v5, v3
	;; [unrolled: 1-line block ×3, first 2 shown]
	ds_write_b128 v3, v[3:6]
	v_mov_b32_e32 v4, v3
	s_and_b64 vcc, exec, s[12:13]
	global_store_dwordx4 v3, v[3:6], s[4:5]
	s_cbranch_vccz .LBB8_22
; %bb.13:
	v_mov_b32_e32 v1, s10
	v_mov_b32_e32 v2, s11
	flat_load_dwordx2 v[1:2], v[1:2]
	s_mov_b64 s[16:17], -1
	s_and_b64 s[16:17], s[16:17], exec
                                        ; implicit-def: $vgpr8_vgpr9
                                        ; implicit-def: $vgpr10_vgpr11
                                        ; implicit-def: $vgpr4_vgpr5
	s_andn2_saveexec_b64 s[18:19], s[18:19]
	s_cbranch_execz .LBB8_23
	s_branch .LBB8_15
.LBB8_14:
	s_andn2_saveexec_b64 s[18:19], s[18:19]
	s_cbranch_execz .LBB8_23
.LBB8_15:
	s_waitcnt vmcnt(0) lgkmcnt(0)
	v_mov_b32_e32 v1, s10
	v_mov_b32_e32 v2, s11
	flat_load_dwordx2 v[12:13], v[1:2]
	s_mov_b32 s2, 0
	s_brev_b32 s3, 8
	v_mov_b32_e32 v3, 0x100
	v_mov_b32_e32 v6, 0x260
	s_and_b64 s[12:13], s[12:13], exec
	s_waitcnt vmcnt(0) lgkmcnt(0)
	v_fma_f64 v[1:2], v[12:13], v[12:13], v[8:9]
	v_add_f64 v[1:2], v[10:11], v[1:2]
	v_cmp_gt_f64_e32 vcc, s[2:3], v[1:2]
	v_cndmask_b32_e32 v3, 0, v3, vcc
	v_ldexp_f64 v[1:2], v[1:2], v3
	v_mov_b32_e32 v3, 0xffffff80
	v_cndmask_b32_e32 v3, 0, v3, vcc
	v_rsq_f64_e32 v[10:11], v[1:2]
	v_cmp_class_f64_e32 vcc, v[1:2], v6
	v_mul_f64 v[14:15], v[1:2], v[10:11]
	v_mul_f64 v[10:11], v[10:11], 0.5
	v_fma_f64 v[16:17], -v[10:11], v[14:15], 0.5
	v_fma_f64 v[14:15], v[14:15], v[16:17], v[14:15]
	v_fma_f64 v[10:11], v[10:11], v[16:17], v[10:11]
	v_fma_f64 v[16:17], -v[14:15], v[14:15], v[1:2]
	v_fma_f64 v[14:15], v[16:17], v[10:11], v[14:15]
	v_fma_f64 v[16:17], -v[14:15], v[14:15], v[1:2]
	v_fma_f64 v[10:11], v[16:17], v[10:11], v[14:15]
	v_ldexp_f64 v[10:11], v[10:11], v3
	v_cndmask_b32_e32 v2, v11, v2, vcc
	v_cndmask_b32_e32 v1, v10, v1, vcc
	v_cmp_le_f64_e32 vcc, 0, v[12:13]
	v_xor_b32_e32 v3, 0x80000000, v2
	v_cndmask_b32_e32 v2, v2, v3, vcc
	v_add_f64 v[10:11], v[12:13], -v[1:2]
	v_add_f64 v[12:13], v[1:2], -v[12:13]
	v_mov_b32_e32 v3, 0
	v_fma_f64 v[14:15], v[10:11], v[10:11], v[8:9]
	v_div_scale_f64 v[8:9], s[2:3], v[14:15], v[14:15], v[10:11]
	v_div_scale_f64 v[16:17], s[2:3], v[14:15], v[14:15], -v[4:5]
	v_rcp_f64_e32 v[18:19], v[8:9]
	v_rcp_f64_e32 v[20:21], v[16:17]
	v_fma_f64 v[22:23], -v[8:9], v[18:19], 1.0
	v_fma_f64 v[24:25], -v[16:17], v[20:21], 1.0
	v_fma_f64 v[18:19], v[18:19], v[22:23], v[18:19]
	v_fma_f64 v[20:21], v[20:21], v[24:25], v[20:21]
	v_div_scale_f64 v[24:25], vcc, v[10:11], v[14:15], v[10:11]
	v_fma_f64 v[22:23], -v[8:9], v[18:19], 1.0
	v_fma_f64 v[18:19], v[18:19], v[22:23], v[18:19]
	v_fma_f64 v[22:23], -v[16:17], v[20:21], 1.0
	v_fma_f64 v[20:21], v[20:21], v[22:23], v[20:21]
	v_mul_f64 v[22:23], v[24:25], v[18:19]
	v_fma_f64 v[8:9], -v[8:9], v[22:23], v[24:25]
	v_div_scale_f64 v[24:25], s[2:3], -v[4:5], v[14:15], -v[4:5]
	v_div_fmas_f64 v[8:9], v[8:9], v[18:19], v[22:23]
	v_div_scale_f64 v[18:19], s[24:25], v[1:2], v[1:2], v[12:13]
	s_mov_b64 vcc, s[2:3]
	v_mul_f64 v[22:23], v[24:25], v[20:21]
	v_div_fixup_f64 v[8:9], v[8:9], v[14:15], v[10:11]
	v_fma_f64 v[16:17], -v[16:17], v[22:23], v[24:25]
	v_rcp_f64_e32 v[24:25], v[18:19]
	v_div_fmas_f64 v[16:17], v[16:17], v[20:21], v[22:23]
	v_div_scale_f64 v[20:21], vcc, v[12:13], v[1:2], v[12:13]
	v_fma_f64 v[26:27], -v[18:19], v[24:25], 1.0
	v_div_fixup_f64 v[10:11], v[16:17], v[14:15], -v[4:5]
	v_fma_f64 v[24:25], v[24:25], v[26:27], v[24:25]
	ds_write_b128 v3, v[8:11]
	v_fma_f64 v[22:23], -v[18:19], v[24:25], 1.0
	v_fma_f64 v[22:23], v[24:25], v[22:23], v[24:25]
	v_mul_f64 v[24:25], v[20:21], v[22:23]
	v_fma_f64 v[18:19], -v[18:19], v[24:25], v[20:21]
	v_div_scale_f64 v[20:21], s[2:3], v[1:2], v[1:2], -v[4:5]
	s_and_b64 s[2:3], s[14:15], exec
	s_andn2_b64 s[14:15], s[16:17], exec
	s_or_b64 s[16:17], s[14:15], s[12:13]
	v_div_fmas_f64 v[18:19], v[18:19], v[22:23], v[24:25]
	v_rcp_f64_e32 v[22:23], v[20:21]
	v_div_fixup_f64 v[12:13], v[18:19], v[1:2], v[12:13]
	v_fma_f64 v[24:25], -v[20:21], v[22:23], 1.0
	v_fma_f64 v[22:23], v[22:23], v[24:25], v[22:23]
	v_fma_f64 v[24:25], -v[20:21], v[22:23], 1.0
	v_fma_f64 v[22:23], v[22:23], v[24:25], v[22:23]
	v_div_scale_f64 v[24:25], vcc, -v[4:5], v[1:2], -v[4:5]
	v_mul_f64 v[26:27], v[24:25], v[22:23]
	v_fma_f64 v[20:21], -v[20:21], v[26:27], v[24:25]
	s_nop 1
	v_div_fmas_f64 v[20:21], v[20:21], v[22:23], v[26:27]
	v_div_fixup_f64 v[14:15], v[20:21], v[1:2], -v[4:5]
	global_store_dwordx4 v3, v[12:15], s[4:5]
	s_or_b64 exec, exec, s[18:19]
	s_and_saveexec_b64 s[4:5], s[16:17]
	s_cbranch_execnz .LBB8_24
.LBB8_16:
	s_or_b64 exec, exec, s[4:5]
	s_and_b64 exec, exec, s[2:3]
	s_cbranch_execz .LBB8_18
.LBB8_17:
	v_mov_b32_e32 v3, 0
	v_mov_b32_e32 v5, s10
	;; [unrolled: 1-line block ×4, first 2 shown]
	s_waitcnt vmcnt(0) lgkmcnt(0)
	flat_store_dwordx4 v[5:6], v[1:4]
.LBB8_18:
	s_or_b64 exec, exec, s[8:9]
	s_waitcnt vmcnt(0) lgkmcnt(0)
	s_barrier
	s_and_saveexec_b64 s[2:3], s[0:1]
	s_cbranch_execz .LBB8_21
; %bb.19:
	v_mov_b32_e32 v1, 0
	ds_read_b128 v[1:4], v1
	s_lshl_b32 s2, s22, 9
	s_mov_b64 s[0:1], 0
	v_mov_b32_e32 v5, s23
.LBB8_20:                               ; =>This Inner Loop Header: Depth=1
	v_ashrrev_i32_e32 v8, 31, v7
	v_lshlrev_b64 v[8:9], 4, v[7:8]
	v_add_u32_e32 v0, 0x200, v0
	v_add_co_u32_e32 v14, vcc, s20, v8
	v_addc_co_u32_e32 v15, vcc, v5, v9, vcc
	flat_load_dwordx4 v[8:11], v[14:15]
	v_cmp_le_i32_e32 vcc, s21, v0
	s_or_b64 s[0:1], vcc, s[0:1]
	v_add_u32_e32 v7, s2, v7
	s_waitcnt vmcnt(0) lgkmcnt(0)
	v_mul_f64 v[12:13], v[3:4], v[10:11]
	v_mul_f64 v[16:17], v[1:2], v[10:11]
	v_fma_f64 v[10:11], v[1:2], v[8:9], -v[12:13]
	v_fma_f64 v[12:13], v[3:4], v[8:9], v[16:17]
	flat_store_dwordx4 v[14:15], v[10:13]
	s_andn2_b64 exec, exec, s[0:1]
	s_cbranch_execnz .LBB8_20
.LBB8_21:
	s_endpgm
.LBB8_22:
                                        ; implicit-def: $vgpr1_vgpr2
	s_and_b64 s[16:17], s[16:17], exec
                                        ; implicit-def: $vgpr8_vgpr9
                                        ; implicit-def: $vgpr10_vgpr11
                                        ; implicit-def: $vgpr4_vgpr5
	s_andn2_saveexec_b64 s[18:19], s[18:19]
	s_cbranch_execnz .LBB8_15
.LBB8_23:
	s_or_b64 exec, exec, s[18:19]
	s_and_saveexec_b64 s[4:5], s[16:17]
	s_cbranch_execz .LBB8_16
.LBB8_24:
	v_mov_b32_e32 v3, 0
	s_waitcnt vmcnt(0) lgkmcnt(0)
	global_store_dwordx2 v3, v[1:2], s[6:7]
	v_mov_b32_e32 v1, 0
	v_mov_b32_e32 v2, 0x3ff00000
	s_or_b64 s[2:3], s[2:3], exec
	s_or_b64 exec, exec, s[4:5]
	s_and_b64 exec, exec, s[2:3]
	s_cbranch_execnz .LBB8_17
	s_branch .LBB8_18
	.section	.rodata,"a",@progbits
	.p2align	6, 0x0
	.amdhsa_kernel _ZN9rocsolver6v33100L18larfg_kernel_smallILi512E19rocblas_complex_numIdEidPKPS3_EEvT1_T3_llPT2_llS8_lS7_lPT0_l
		.amdhsa_group_segment_fixed_size 128
		.amdhsa_private_segment_fixed_size 0
		.amdhsa_kernarg_size 104
		.amdhsa_user_sgpr_count 6
		.amdhsa_user_sgpr_private_segment_buffer 1
		.amdhsa_user_sgpr_dispatch_ptr 0
		.amdhsa_user_sgpr_queue_ptr 0
		.amdhsa_user_sgpr_kernarg_segment_ptr 1
		.amdhsa_user_sgpr_dispatch_id 0
		.amdhsa_user_sgpr_flat_scratch_init 0
		.amdhsa_user_sgpr_private_segment_size 0
		.amdhsa_uses_dynamic_stack 0
		.amdhsa_system_sgpr_private_segment_wavefront_offset 0
		.amdhsa_system_sgpr_workgroup_id_x 1
		.amdhsa_system_sgpr_workgroup_id_y 0
		.amdhsa_system_sgpr_workgroup_id_z 1
		.amdhsa_system_sgpr_workgroup_info 0
		.amdhsa_system_vgpr_workitem_id 0
		.amdhsa_next_free_vgpr 28
		.amdhsa_next_free_sgpr 26
		.amdhsa_reserve_vcc 1
		.amdhsa_reserve_flat_scratch 0
		.amdhsa_float_round_mode_32 0
		.amdhsa_float_round_mode_16_64 0
		.amdhsa_float_denorm_mode_32 3
		.amdhsa_float_denorm_mode_16_64 3
		.amdhsa_dx10_clamp 1
		.amdhsa_ieee_mode 1
		.amdhsa_fp16_overflow 0
		.amdhsa_exception_fp_ieee_invalid_op 0
		.amdhsa_exception_fp_denorm_src 0
		.amdhsa_exception_fp_ieee_div_zero 0
		.amdhsa_exception_fp_ieee_overflow 0
		.amdhsa_exception_fp_ieee_underflow 0
		.amdhsa_exception_fp_ieee_inexact 0
		.amdhsa_exception_int_div_zero 0
	.end_amdhsa_kernel
	.section	.text._ZN9rocsolver6v33100L18larfg_kernel_smallILi512E19rocblas_complex_numIdEidPKPS3_EEvT1_T3_llPT2_llS8_lS7_lPT0_l,"axG",@progbits,_ZN9rocsolver6v33100L18larfg_kernel_smallILi512E19rocblas_complex_numIdEidPKPS3_EEvT1_T3_llPT2_llS8_lS7_lPT0_l,comdat
.Lfunc_end8:
	.size	_ZN9rocsolver6v33100L18larfg_kernel_smallILi512E19rocblas_complex_numIdEidPKPS3_EEvT1_T3_llPT2_llS8_lS7_lPT0_l, .Lfunc_end8-_ZN9rocsolver6v33100L18larfg_kernel_smallILi512E19rocblas_complex_numIdEidPKPS3_EEvT1_T3_llPT2_llS8_lS7_lPT0_l
                                        ; -- End function
	.set _ZN9rocsolver6v33100L18larfg_kernel_smallILi512E19rocblas_complex_numIdEidPKPS3_EEvT1_T3_llPT2_llS8_lS7_lPT0_l.num_vgpr, 28
	.set _ZN9rocsolver6v33100L18larfg_kernel_smallILi512E19rocblas_complex_numIdEidPKPS3_EEvT1_T3_llPT2_llS8_lS7_lPT0_l.num_agpr, 0
	.set _ZN9rocsolver6v33100L18larfg_kernel_smallILi512E19rocblas_complex_numIdEidPKPS3_EEvT1_T3_llPT2_llS8_lS7_lPT0_l.numbered_sgpr, 26
	.set _ZN9rocsolver6v33100L18larfg_kernel_smallILi512E19rocblas_complex_numIdEidPKPS3_EEvT1_T3_llPT2_llS8_lS7_lPT0_l.num_named_barrier, 0
	.set _ZN9rocsolver6v33100L18larfg_kernel_smallILi512E19rocblas_complex_numIdEidPKPS3_EEvT1_T3_llPT2_llS8_lS7_lPT0_l.private_seg_size, 0
	.set _ZN9rocsolver6v33100L18larfg_kernel_smallILi512E19rocblas_complex_numIdEidPKPS3_EEvT1_T3_llPT2_llS8_lS7_lPT0_l.uses_vcc, 1
	.set _ZN9rocsolver6v33100L18larfg_kernel_smallILi512E19rocblas_complex_numIdEidPKPS3_EEvT1_T3_llPT2_llS8_lS7_lPT0_l.uses_flat_scratch, 0
	.set _ZN9rocsolver6v33100L18larfg_kernel_smallILi512E19rocblas_complex_numIdEidPKPS3_EEvT1_T3_llPT2_llS8_lS7_lPT0_l.has_dyn_sized_stack, 0
	.set _ZN9rocsolver6v33100L18larfg_kernel_smallILi512E19rocblas_complex_numIdEidPKPS3_EEvT1_T3_llPT2_llS8_lS7_lPT0_l.has_recursion, 0
	.set _ZN9rocsolver6v33100L18larfg_kernel_smallILi512E19rocblas_complex_numIdEidPKPS3_EEvT1_T3_llPT2_llS8_lS7_lPT0_l.has_indirect_call, 0
	.section	.AMDGPU.csdata,"",@progbits
; Kernel info:
; codeLenInByte = 2228
; TotalNumSgprs: 30
; NumVgprs: 28
; ScratchSize: 0
; MemoryBound: 0
; FloatMode: 240
; IeeeMode: 1
; LDSByteSize: 128 bytes/workgroup (compile time only)
; SGPRBlocks: 3
; VGPRBlocks: 6
; NumSGPRsForWavesPerEU: 30
; NumVGPRsForWavesPerEU: 28
; Occupancy: 9
; WaveLimiterHint : 1
; COMPUTE_PGM_RSRC2:SCRATCH_EN: 0
; COMPUTE_PGM_RSRC2:USER_SGPR: 6
; COMPUTE_PGM_RSRC2:TRAP_HANDLER: 0
; COMPUTE_PGM_RSRC2:TGID_X_EN: 1
; COMPUTE_PGM_RSRC2:TGID_Y_EN: 0
; COMPUTE_PGM_RSRC2:TGID_Z_EN: 1
; COMPUTE_PGM_RSRC2:TIDIG_COMP_CNT: 0
	.section	.text._ZN9rocsolver6v33100L18larfg_kernel_smallILi1024E19rocblas_complex_numIdEidPKPS3_EEvT1_T3_llPT2_llS8_lS7_lPT0_l,"axG",@progbits,_ZN9rocsolver6v33100L18larfg_kernel_smallILi1024E19rocblas_complex_numIdEidPKPS3_EEvT1_T3_llPT2_llS8_lS7_lPT0_l,comdat
	.globl	_ZN9rocsolver6v33100L18larfg_kernel_smallILi1024E19rocblas_complex_numIdEidPKPS3_EEvT1_T3_llPT2_llS8_lS7_lPT0_l ; -- Begin function _ZN9rocsolver6v33100L18larfg_kernel_smallILi1024E19rocblas_complex_numIdEidPKPS3_EEvT1_T3_llPT2_llS8_lS7_lPT0_l
	.p2align	8
	.type	_ZN9rocsolver6v33100L18larfg_kernel_smallILi1024E19rocblas_complex_numIdEidPKPS3_EEvT1_T3_llPT2_llS8_lS7_lPT0_l,@function
_ZN9rocsolver6v33100L18larfg_kernel_smallILi1024E19rocblas_complex_numIdEidPKPS3_EEvT1_T3_llPT2_llS8_lS7_lPT0_l: ; @_ZN9rocsolver6v33100L18larfg_kernel_smallILi1024E19rocblas_complex_numIdEidPKPS3_EEvT1_T3_llPT2_llS8_lS7_lPT0_l
; %bb.0:
	s_load_dwordx4 s[0:3], s[4:5], 0x8
	s_load_dwordx8 s[8:15], s[4:5], 0x20
	s_load_dwordx2 s[18:19], s[4:5], 0x40
	s_mov_b32 s16, s7
	s_ashr_i32 s17, s7, 31
	s_lshl_b64 s[6:7], s[16:17], 3
	s_waitcnt lgkmcnt(0)
	s_add_u32 s0, s0, s6
	s_addc_u32 s1, s1, s7
	s_add_u32 s6, s14, s6
	s_addc_u32 s7, s15, s7
	s_load_dwordx2 s[14:15], s[6:7], 0x0
	s_cmp_eq_u64 s[8:9], 0
	s_mov_b64 s[6:7], 0
	s_cbranch_scc1 .LBB9_2
; %bb.1:
	s_mul_i32 s6, s12, s17
	s_mul_hi_u32 s7, s12, s16
	s_add_i32 s6, s7, s6
	s_mul_i32 s7, s13, s16
	s_add_i32 s7, s6, s7
	s_mul_i32 s6, s12, s16
	s_lshl_b64 s[6:7], s[6:7], 3
	s_add_u32 s8, s8, s6
	s_addc_u32 s9, s9, s7
	s_lshl_b64 s[6:7], s[10:11], 3
	s_add_u32 s6, s8, s6
	s_addc_u32 s7, s9, s7
.LBB9_2:
	s_load_dwordx2 s[8:9], s[0:1], 0x0
	s_load_dword s21, s[4:5], 0x0
	s_load_dword s22, s[4:5], 0x48
	s_lshl_b64 s[0:1], s[18:19], 4
	s_waitcnt lgkmcnt(0)
	s_add_u32 s20, s14, s0
	s_addc_u32 s23, s15, s1
	s_add_i32 s21, s21, -1
	v_mul_lo_u32 v7, v0, s22
	v_mov_b32_e32 v1, 0
	v_mov_b32_e32 v3, 0
	;; [unrolled: 1-line block ×4, first 2 shown]
	v_cmp_gt_i32_e64 s[0:1], s21, v0
	s_and_saveexec_b64 s[10:11], s[0:1]
	s_cbranch_execz .LBB9_6
; %bb.3:
	v_mul_lo_u32 v5, v0, s22
	v_mov_b32_e32 v1, 0
	v_mov_b32_e32 v3, 0
	s_lshl_b32 s14, s22, 10
	v_mov_b32_e32 v2, 0
	s_mov_b64 s[12:13], 0
	v_mov_b32_e32 v8, s23
	v_mov_b32_e32 v4, 0
	v_mov_b32_e32 v9, v0
.LBB9_4:                                ; =>This Inner Loop Header: Depth=1
	v_ashrrev_i32_e32 v6, 31, v5
	v_lshlrev_b64 v[10:11], 4, v[5:6]
	v_add_u32_e32 v9, 0x400, v9
	v_add_co_u32_e32 v10, vcc, s20, v10
	v_addc_co_u32_e32 v11, vcc, v8, v11, vcc
	flat_load_dwordx4 v[10:13], v[10:11]
	v_cmp_le_i32_e32 vcc, s21, v9
	s_or_b64 s[12:13], vcc, s[12:13]
	v_add_u32_e32 v5, s14, v5
	s_waitcnt vmcnt(0) lgkmcnt(0)
	v_mul_f64 v[14:15], v[12:13], v[12:13]
	v_mul_f64 v[16:17], v[10:11], v[12:13]
	v_fma_f64 v[14:15], v[10:11], v[10:11], v[14:15]
	v_fma_f64 v[10:11], v[10:11], v[12:13], -v[16:17]
	v_add_f64 v[3:4], v[3:4], v[14:15]
	v_add_f64 v[1:2], v[1:2], v[10:11]
	s_andn2_b64 exec, exec, s[12:13]
	s_cbranch_execnz .LBB9_4
; %bb.5:
	s_or_b64 exec, exec, s[12:13]
.LBB9_6:
	s_or_b64 exec, exec, s[10:11]
	v_mbcnt_lo_u32_b32 v5, -1, 0
	v_mbcnt_hi_u32_b32 v10, -1, v5
	v_and_b32_e32 v11, 63, v10
	v_cmp_ne_u32_e32 vcc, 63, v11
	v_addc_co_u32_e32 v5, vcc, 0, v10, vcc
	v_lshlrev_b32_e32 v9, 2, v5
	ds_bpermute_b32 v5, v9, v3
	ds_bpermute_b32 v6, v9, v4
	;; [unrolled: 1-line block ×4, first 2 shown]
	v_cmp_gt_u32_e32 vcc, 62, v11
	s_waitcnt lgkmcnt(2)
	v_add_f64 v[3:4], v[3:4], v[5:6]
	v_cndmask_b32_e64 v5, 0, 2, vcc
	s_waitcnt lgkmcnt(0)
	v_add_f64 v[1:2], v[1:2], v[8:9]
	v_add_lshl_u32 v9, v5, v10, 2
	v_cmp_gt_u32_e32 vcc, 60, v11
	ds_bpermute_b32 v5, v9, v3
	ds_bpermute_b32 v6, v9, v4
	ds_bpermute_b32 v8, v9, v1
	ds_bpermute_b32 v9, v9, v2
	s_waitcnt lgkmcnt(2)
	v_add_f64 v[3:4], v[3:4], v[5:6]
	v_cndmask_b32_e64 v5, 0, 4, vcc
	s_waitcnt lgkmcnt(0)
	v_add_f64 v[1:2], v[1:2], v[8:9]
	v_add_lshl_u32 v9, v5, v10, 2
	v_cmp_gt_u32_e32 vcc, 56, v11
	ds_bpermute_b32 v5, v9, v3
	ds_bpermute_b32 v6, v9, v4
	ds_bpermute_b32 v8, v9, v1
	ds_bpermute_b32 v9, v9, v2
	;; [unrolled: 11-line block ×3, first 2 shown]
	s_waitcnt lgkmcnt(2)
	v_add_f64 v[3:4], v[3:4], v[5:6]
	v_cndmask_b32_e64 v5, 0, 16, vcc
	s_waitcnt lgkmcnt(0)
	v_add_f64 v[1:2], v[1:2], v[8:9]
	v_add_lshl_u32 v9, v5, v10, 2
	ds_bpermute_b32 v5, v9, v3
	ds_bpermute_b32 v6, v9, v4
	;; [unrolled: 1-line block ×4, first 2 shown]
	s_waitcnt lgkmcnt(2)
	v_add_f64 v[3:4], v[3:4], v[5:6]
	s_waitcnt lgkmcnt(0)
	v_add_f64 v[5:6], v[1:2], v[8:9]
	v_mov_b32_e32 v1, 0x80
	v_lshl_or_b32 v9, v10, 2, v1
	ds_bpermute_b32 v1, v9, v3
	ds_bpermute_b32 v2, v9, v4
	;; [unrolled: 1-line block ×4, first 2 shown]
	s_waitcnt lgkmcnt(2)
	v_add_f64 v[1:2], v[3:4], v[1:2]
	s_waitcnt lgkmcnt(0)
	v_add_f64 v[3:4], v[5:6], v[8:9]
	v_and_b32_e32 v5, 63, v0
	v_cmp_eq_u32_e32 vcc, 0, v5
	s_and_saveexec_b64 s[10:11], vcc
; %bb.7:
	v_lshrrev_b32_e32 v5, 2, v0
	ds_write_b128 v5, v[1:4]
; %bb.8:
	s_or_b64 exec, exec, s[10:11]
	v_cmp_eq_u32_e32 vcc, 0, v0
	s_waitcnt lgkmcnt(0)
	s_barrier
	s_and_saveexec_b64 s[10:11], vcc
	s_cbranch_execz .LBB9_10
; %bb.9:
	v_mov_b32_e32 v16, 0
	ds_read_b128 v[8:11], v16 offset:16
	ds_read_b128 v[12:15], v16 offset:32
	s_waitcnt lgkmcnt(1)
	v_add_f64 v[1:2], v[1:2], v[8:9]
	v_add_f64 v[3:4], v[3:4], v[10:11]
	s_waitcnt lgkmcnt(0)
	v_add_f64 v[5:6], v[1:2], v[12:13]
	v_add_f64 v[12:13], v[3:4], v[14:15]
	ds_read_b128 v[1:4], v16 offset:48
	ds_read_b128 v[8:11], v16 offset:64
	s_waitcnt lgkmcnt(1)
	v_add_f64 v[1:2], v[5:6], v[1:2]
	v_add_f64 v[3:4], v[12:13], v[3:4]
	s_waitcnt lgkmcnt(0)
	v_add_f64 v[5:6], v[1:2], v[8:9]
	v_add_f64 v[12:13], v[3:4], v[10:11]
	;; [unrolled: 8-line block ×7, first 2 shown]
	ds_read_b128 v[1:4], v16 offset:240
	s_waitcnt lgkmcnt(0)
	v_add_f64 v[1:2], v[5:6], v[1:2]
	v_add_f64 v[3:4], v[8:9], v[3:4]
	ds_write_b128 v16, v[1:4]
.LBB9_10:
	s_or_b64 exec, exec, s[10:11]
	s_waitcnt lgkmcnt(0)
	s_barrier
	s_and_saveexec_b64 s[10:11], vcc
	s_cbranch_execz .LBB9_18
; %bb.11:
	s_lshl_b64 s[2:3], s[2:3], 4
	s_add_u32 s8, s8, s2
	s_addc_u32 s9, s9, s3
	v_mov_b32_e32 v1, s8
	v_mov_b32_e32 v2, s9
	flat_load_dwordx2 v[4:5], v[1:2] offset:8
	v_mov_b32_e32 v3, 0
	ds_read_b64 v[10:11], v3
	s_load_dwordx4 s[12:15], s[4:5], 0x58
	s_waitcnt lgkmcnt(0)
	v_max_f64 v[1:2], v[10:11], v[10:11]
	s_mul_i32 s2, s14, s17
	s_mul_hi_u32 s3, s14, s16
	s_add_i32 s2, s3, s2
	s_mul_i32 s3, s15, s16
	s_add_i32 s3, s2, s3
	s_mul_i32 s2, s14, s16
	s_lshl_b64 s[2:3], s[2:3], 4
	s_add_u32 s4, s12, s2
	s_addc_u32 s5, s13, s3
	s_cmp_eq_u64 s[6:7], 0
	s_cselect_b64 s[14:15], -1, 0
	s_cmp_lg_u64 s[6:7], 0
	s_mov_b64 s[2:3], 0
	s_cselect_b64 s[12:13], -1, 0
	s_mov_b64 s[16:17], 0
	s_waitcnt vmcnt(0)
	v_mul_f64 v[8:9], v[4:5], v[4:5]
	v_max_f64 v[1:2], v[1:2], v[8:9]
	v_cmp_nlt_f64_e32 vcc, 0, v[1:2]
                                        ; implicit-def: $vgpr1_vgpr2
	s_and_saveexec_b64 s[18:19], vcc
	s_xor_b64 s[18:19], exec, s[18:19]
	s_cbranch_execz .LBB9_14
; %bb.12:
	v_mov_b32_e32 v4, 0x3ff00000
	v_mov_b32_e32 v5, v3
	;; [unrolled: 1-line block ×3, first 2 shown]
	ds_write_b128 v3, v[3:6]
	v_mov_b32_e32 v4, v3
	s_and_b64 vcc, exec, s[12:13]
	global_store_dwordx4 v3, v[3:6], s[4:5]
	s_cbranch_vccz .LBB9_22
; %bb.13:
	v_mov_b32_e32 v1, s8
	v_mov_b32_e32 v2, s9
	flat_load_dwordx2 v[1:2], v[1:2]
	s_mov_b64 s[16:17], -1
	s_and_b64 s[16:17], s[16:17], exec
                                        ; implicit-def: $vgpr8_vgpr9
                                        ; implicit-def: $vgpr10_vgpr11
                                        ; implicit-def: $vgpr4_vgpr5
	s_andn2_saveexec_b64 s[18:19], s[18:19]
	s_cbranch_execz .LBB9_23
	s_branch .LBB9_15
.LBB9_14:
	s_andn2_saveexec_b64 s[18:19], s[18:19]
	s_cbranch_execz .LBB9_23
.LBB9_15:
	s_waitcnt vmcnt(0) lgkmcnt(0)
	v_mov_b32_e32 v1, s8
	v_mov_b32_e32 v2, s9
	flat_load_dwordx2 v[12:13], v[1:2]
	s_mov_b32 s2, 0
	s_brev_b32 s3, 8
	v_mov_b32_e32 v3, 0x100
	v_mov_b32_e32 v6, 0x260
	s_and_b64 s[12:13], s[12:13], exec
	s_waitcnt vmcnt(0) lgkmcnt(0)
	v_fma_f64 v[1:2], v[12:13], v[12:13], v[8:9]
	v_add_f64 v[1:2], v[10:11], v[1:2]
	v_cmp_gt_f64_e32 vcc, s[2:3], v[1:2]
	v_cndmask_b32_e32 v3, 0, v3, vcc
	v_ldexp_f64 v[1:2], v[1:2], v3
	v_mov_b32_e32 v3, 0xffffff80
	v_cndmask_b32_e32 v3, 0, v3, vcc
	v_rsq_f64_e32 v[10:11], v[1:2]
	v_cmp_class_f64_e32 vcc, v[1:2], v6
	v_mul_f64 v[14:15], v[1:2], v[10:11]
	v_mul_f64 v[10:11], v[10:11], 0.5
	v_fma_f64 v[16:17], -v[10:11], v[14:15], 0.5
	v_fma_f64 v[14:15], v[14:15], v[16:17], v[14:15]
	v_fma_f64 v[10:11], v[10:11], v[16:17], v[10:11]
	v_fma_f64 v[16:17], -v[14:15], v[14:15], v[1:2]
	v_fma_f64 v[14:15], v[16:17], v[10:11], v[14:15]
	v_fma_f64 v[16:17], -v[14:15], v[14:15], v[1:2]
	v_fma_f64 v[10:11], v[16:17], v[10:11], v[14:15]
	v_ldexp_f64 v[10:11], v[10:11], v3
	v_cndmask_b32_e32 v2, v11, v2, vcc
	v_cndmask_b32_e32 v1, v10, v1, vcc
	v_cmp_le_f64_e32 vcc, 0, v[12:13]
	v_xor_b32_e32 v3, 0x80000000, v2
	v_cndmask_b32_e32 v2, v2, v3, vcc
	v_add_f64 v[10:11], v[12:13], -v[1:2]
	v_add_f64 v[12:13], v[1:2], -v[12:13]
	v_mov_b32_e32 v3, 0
	v_fma_f64 v[14:15], v[10:11], v[10:11], v[8:9]
	v_div_scale_f64 v[8:9], s[2:3], v[14:15], v[14:15], v[10:11]
	v_div_scale_f64 v[16:17], s[2:3], v[14:15], v[14:15], -v[4:5]
	v_rcp_f64_e32 v[18:19], v[8:9]
	v_rcp_f64_e32 v[20:21], v[16:17]
	v_fma_f64 v[22:23], -v[8:9], v[18:19], 1.0
	v_fma_f64 v[24:25], -v[16:17], v[20:21], 1.0
	v_fma_f64 v[18:19], v[18:19], v[22:23], v[18:19]
	v_fma_f64 v[20:21], v[20:21], v[24:25], v[20:21]
	v_div_scale_f64 v[24:25], vcc, v[10:11], v[14:15], v[10:11]
	v_fma_f64 v[22:23], -v[8:9], v[18:19], 1.0
	v_fma_f64 v[18:19], v[18:19], v[22:23], v[18:19]
	v_fma_f64 v[22:23], -v[16:17], v[20:21], 1.0
	v_fma_f64 v[20:21], v[20:21], v[22:23], v[20:21]
	v_mul_f64 v[22:23], v[24:25], v[18:19]
	v_fma_f64 v[8:9], -v[8:9], v[22:23], v[24:25]
	v_div_scale_f64 v[24:25], s[2:3], -v[4:5], v[14:15], -v[4:5]
	v_div_fmas_f64 v[8:9], v[8:9], v[18:19], v[22:23]
	v_div_scale_f64 v[18:19], s[24:25], v[1:2], v[1:2], v[12:13]
	s_mov_b64 vcc, s[2:3]
	v_mul_f64 v[22:23], v[24:25], v[20:21]
	v_div_fixup_f64 v[8:9], v[8:9], v[14:15], v[10:11]
	v_fma_f64 v[16:17], -v[16:17], v[22:23], v[24:25]
	v_rcp_f64_e32 v[24:25], v[18:19]
	v_div_fmas_f64 v[16:17], v[16:17], v[20:21], v[22:23]
	v_div_scale_f64 v[20:21], vcc, v[12:13], v[1:2], v[12:13]
	v_fma_f64 v[26:27], -v[18:19], v[24:25], 1.0
	v_div_fixup_f64 v[10:11], v[16:17], v[14:15], -v[4:5]
	v_fma_f64 v[24:25], v[24:25], v[26:27], v[24:25]
	ds_write_b128 v3, v[8:11]
	v_fma_f64 v[22:23], -v[18:19], v[24:25], 1.0
	v_fma_f64 v[22:23], v[24:25], v[22:23], v[24:25]
	v_mul_f64 v[24:25], v[20:21], v[22:23]
	v_fma_f64 v[18:19], -v[18:19], v[24:25], v[20:21]
	v_div_scale_f64 v[20:21], s[2:3], v[1:2], v[1:2], -v[4:5]
	s_and_b64 s[2:3], s[14:15], exec
	s_andn2_b64 s[14:15], s[16:17], exec
	s_or_b64 s[16:17], s[14:15], s[12:13]
	v_div_fmas_f64 v[18:19], v[18:19], v[22:23], v[24:25]
	v_rcp_f64_e32 v[22:23], v[20:21]
	v_div_fixup_f64 v[12:13], v[18:19], v[1:2], v[12:13]
	v_fma_f64 v[24:25], -v[20:21], v[22:23], 1.0
	v_fma_f64 v[22:23], v[22:23], v[24:25], v[22:23]
	v_fma_f64 v[24:25], -v[20:21], v[22:23], 1.0
	v_fma_f64 v[22:23], v[22:23], v[24:25], v[22:23]
	v_div_scale_f64 v[24:25], vcc, -v[4:5], v[1:2], -v[4:5]
	v_mul_f64 v[26:27], v[24:25], v[22:23]
	v_fma_f64 v[20:21], -v[20:21], v[26:27], v[24:25]
	s_nop 1
	v_div_fmas_f64 v[20:21], v[20:21], v[22:23], v[26:27]
	v_div_fixup_f64 v[14:15], v[20:21], v[1:2], -v[4:5]
	global_store_dwordx4 v3, v[12:15], s[4:5]
	s_or_b64 exec, exec, s[18:19]
	s_and_saveexec_b64 s[4:5], s[16:17]
	s_cbranch_execnz .LBB9_24
.LBB9_16:
	s_or_b64 exec, exec, s[4:5]
	s_and_b64 exec, exec, s[2:3]
	s_cbranch_execz .LBB9_18
.LBB9_17:
	v_mov_b32_e32 v3, 0
	v_mov_b32_e32 v5, s8
	;; [unrolled: 1-line block ×4, first 2 shown]
	s_waitcnt vmcnt(0) lgkmcnt(0)
	flat_store_dwordx4 v[5:6], v[1:4]
.LBB9_18:
	s_or_b64 exec, exec, s[10:11]
	s_waitcnt vmcnt(0) lgkmcnt(0)
	s_barrier
	s_and_saveexec_b64 s[2:3], s[0:1]
	s_cbranch_execz .LBB9_21
; %bb.19:
	v_mov_b32_e32 v1, 0
	ds_read_b128 v[1:4], v1
	s_lshl_b32 s2, s22, 10
	s_mov_b64 s[0:1], 0
	v_mov_b32_e32 v5, s23
.LBB9_20:                               ; =>This Inner Loop Header: Depth=1
	v_ashrrev_i32_e32 v8, 31, v7
	v_lshlrev_b64 v[8:9], 4, v[7:8]
	v_add_u32_e32 v0, 0x400, v0
	v_add_co_u32_e32 v14, vcc, s20, v8
	v_addc_co_u32_e32 v15, vcc, v5, v9, vcc
	flat_load_dwordx4 v[8:11], v[14:15]
	v_cmp_le_i32_e32 vcc, s21, v0
	s_or_b64 s[0:1], vcc, s[0:1]
	v_add_u32_e32 v7, s2, v7
	s_waitcnt vmcnt(0) lgkmcnt(0)
	v_mul_f64 v[12:13], v[3:4], v[10:11]
	v_mul_f64 v[16:17], v[1:2], v[10:11]
	v_fma_f64 v[10:11], v[1:2], v[8:9], -v[12:13]
	v_fma_f64 v[12:13], v[3:4], v[8:9], v[16:17]
	flat_store_dwordx4 v[14:15], v[10:13]
	s_andn2_b64 exec, exec, s[0:1]
	s_cbranch_execnz .LBB9_20
.LBB9_21:
	s_endpgm
.LBB9_22:
                                        ; implicit-def: $vgpr1_vgpr2
	s_and_b64 s[16:17], s[16:17], exec
                                        ; implicit-def: $vgpr8_vgpr9
                                        ; implicit-def: $vgpr10_vgpr11
                                        ; implicit-def: $vgpr4_vgpr5
	s_andn2_saveexec_b64 s[18:19], s[18:19]
	s_cbranch_execnz .LBB9_15
.LBB9_23:
	s_or_b64 exec, exec, s[18:19]
	s_and_saveexec_b64 s[4:5], s[16:17]
	s_cbranch_execz .LBB9_16
.LBB9_24:
	v_mov_b32_e32 v3, 0
	s_waitcnt vmcnt(0) lgkmcnt(0)
	global_store_dwordx2 v3, v[1:2], s[6:7]
	v_mov_b32_e32 v1, 0
	v_mov_b32_e32 v2, 0x3ff00000
	s_or_b64 s[2:3], s[2:3], exec
	s_or_b64 exec, exec, s[4:5]
	s_and_b64 exec, exec, s[2:3]
	s_cbranch_execnz .LBB9_17
	s_branch .LBB9_18
	.section	.rodata,"a",@progbits
	.p2align	6, 0x0
	.amdhsa_kernel _ZN9rocsolver6v33100L18larfg_kernel_smallILi1024E19rocblas_complex_numIdEidPKPS3_EEvT1_T3_llPT2_llS8_lS7_lPT0_l
		.amdhsa_group_segment_fixed_size 256
		.amdhsa_private_segment_fixed_size 0
		.amdhsa_kernarg_size 104
		.amdhsa_user_sgpr_count 6
		.amdhsa_user_sgpr_private_segment_buffer 1
		.amdhsa_user_sgpr_dispatch_ptr 0
		.amdhsa_user_sgpr_queue_ptr 0
		.amdhsa_user_sgpr_kernarg_segment_ptr 1
		.amdhsa_user_sgpr_dispatch_id 0
		.amdhsa_user_sgpr_flat_scratch_init 0
		.amdhsa_user_sgpr_private_segment_size 0
		.amdhsa_uses_dynamic_stack 0
		.amdhsa_system_sgpr_private_segment_wavefront_offset 0
		.amdhsa_system_sgpr_workgroup_id_x 1
		.amdhsa_system_sgpr_workgroup_id_y 0
		.amdhsa_system_sgpr_workgroup_id_z 1
		.amdhsa_system_sgpr_workgroup_info 0
		.amdhsa_system_vgpr_workitem_id 0
		.amdhsa_next_free_vgpr 28
		.amdhsa_next_free_sgpr 26
		.amdhsa_reserve_vcc 1
		.amdhsa_reserve_flat_scratch 0
		.amdhsa_float_round_mode_32 0
		.amdhsa_float_round_mode_16_64 0
		.amdhsa_float_denorm_mode_32 3
		.amdhsa_float_denorm_mode_16_64 3
		.amdhsa_dx10_clamp 1
		.amdhsa_ieee_mode 1
		.amdhsa_fp16_overflow 0
		.amdhsa_exception_fp_ieee_invalid_op 0
		.amdhsa_exception_fp_denorm_src 0
		.amdhsa_exception_fp_ieee_div_zero 0
		.amdhsa_exception_fp_ieee_overflow 0
		.amdhsa_exception_fp_ieee_underflow 0
		.amdhsa_exception_fp_ieee_inexact 0
		.amdhsa_exception_int_div_zero 0
	.end_amdhsa_kernel
	.section	.text._ZN9rocsolver6v33100L18larfg_kernel_smallILi1024E19rocblas_complex_numIdEidPKPS3_EEvT1_T3_llPT2_llS8_lS7_lPT0_l,"axG",@progbits,_ZN9rocsolver6v33100L18larfg_kernel_smallILi1024E19rocblas_complex_numIdEidPKPS3_EEvT1_T3_llPT2_llS8_lS7_lPT0_l,comdat
.Lfunc_end9:
	.size	_ZN9rocsolver6v33100L18larfg_kernel_smallILi1024E19rocblas_complex_numIdEidPKPS3_EEvT1_T3_llPT2_llS8_lS7_lPT0_l, .Lfunc_end9-_ZN9rocsolver6v33100L18larfg_kernel_smallILi1024E19rocblas_complex_numIdEidPKPS3_EEvT1_T3_llPT2_llS8_lS7_lPT0_l
                                        ; -- End function
	.set _ZN9rocsolver6v33100L18larfg_kernel_smallILi1024E19rocblas_complex_numIdEidPKPS3_EEvT1_T3_llPT2_llS8_lS7_lPT0_l.num_vgpr, 28
	.set _ZN9rocsolver6v33100L18larfg_kernel_smallILi1024E19rocblas_complex_numIdEidPKPS3_EEvT1_T3_llPT2_llS8_lS7_lPT0_l.num_agpr, 0
	.set _ZN9rocsolver6v33100L18larfg_kernel_smallILi1024E19rocblas_complex_numIdEidPKPS3_EEvT1_T3_llPT2_llS8_lS7_lPT0_l.numbered_sgpr, 26
	.set _ZN9rocsolver6v33100L18larfg_kernel_smallILi1024E19rocblas_complex_numIdEidPKPS3_EEvT1_T3_llPT2_llS8_lS7_lPT0_l.num_named_barrier, 0
	.set _ZN9rocsolver6v33100L18larfg_kernel_smallILi1024E19rocblas_complex_numIdEidPKPS3_EEvT1_T3_llPT2_llS8_lS7_lPT0_l.private_seg_size, 0
	.set _ZN9rocsolver6v33100L18larfg_kernel_smallILi1024E19rocblas_complex_numIdEidPKPS3_EEvT1_T3_llPT2_llS8_lS7_lPT0_l.uses_vcc, 1
	.set _ZN9rocsolver6v33100L18larfg_kernel_smallILi1024E19rocblas_complex_numIdEidPKPS3_EEvT1_T3_llPT2_llS8_lS7_lPT0_l.uses_flat_scratch, 0
	.set _ZN9rocsolver6v33100L18larfg_kernel_smallILi1024E19rocblas_complex_numIdEidPKPS3_EEvT1_T3_llPT2_llS8_lS7_lPT0_l.has_dyn_sized_stack, 0
	.set _ZN9rocsolver6v33100L18larfg_kernel_smallILi1024E19rocblas_complex_numIdEidPKPS3_EEvT1_T3_llPT2_llS8_lS7_lPT0_l.has_recursion, 0
	.set _ZN9rocsolver6v33100L18larfg_kernel_smallILi1024E19rocblas_complex_numIdEidPKPS3_EEvT1_T3_llPT2_llS8_lS7_lPT0_l.has_indirect_call, 0
	.section	.AMDGPU.csdata,"",@progbits
; Kernel info:
; codeLenInByte = 2452
; TotalNumSgprs: 30
; NumVgprs: 28
; ScratchSize: 0
; MemoryBound: 0
; FloatMode: 240
; IeeeMode: 1
; LDSByteSize: 256 bytes/workgroup (compile time only)
; SGPRBlocks: 3
; VGPRBlocks: 6
; NumSGPRsForWavesPerEU: 30
; NumVGPRsForWavesPerEU: 28
; Occupancy: 9
; WaveLimiterHint : 1
; COMPUTE_PGM_RSRC2:SCRATCH_EN: 0
; COMPUTE_PGM_RSRC2:USER_SGPR: 6
; COMPUTE_PGM_RSRC2:TRAP_HANDLER: 0
; COMPUTE_PGM_RSRC2:TGID_X_EN: 1
; COMPUTE_PGM_RSRC2:TGID_Y_EN: 0
; COMPUTE_PGM_RSRC2:TGID_Z_EN: 1
; COMPUTE_PGM_RSRC2:TIDIG_COMP_CNT: 0
	.section	.text._ZN9rocsolver6v33100L18larfg_kernel_smallILi64E19rocblas_complex_numIdEldPS3_EEvT1_T3_llPT2_llS6_lS5_lPT0_l,"axG",@progbits,_ZN9rocsolver6v33100L18larfg_kernel_smallILi64E19rocblas_complex_numIdEldPS3_EEvT1_T3_llPT2_llS6_lS5_lPT0_l,comdat
	.globl	_ZN9rocsolver6v33100L18larfg_kernel_smallILi64E19rocblas_complex_numIdEldPS3_EEvT1_T3_llPT2_llS6_lS5_lPT0_l ; -- Begin function _ZN9rocsolver6v33100L18larfg_kernel_smallILi64E19rocblas_complex_numIdEldPS3_EEvT1_T3_llPT2_llS6_lS5_lPT0_l
	.p2align	8
	.type	_ZN9rocsolver6v33100L18larfg_kernel_smallILi64E19rocblas_complex_numIdEldPS3_EEvT1_T3_llPT2_llS6_lS5_lPT0_l,@function
_ZN9rocsolver6v33100L18larfg_kernel_smallILi64E19rocblas_complex_numIdEldPS3_EEvT1_T3_llPT2_llS6_lS5_lPT0_l: ; @_ZN9rocsolver6v33100L18larfg_kernel_smallILi64E19rocblas_complex_numIdEldPS3_EEvT1_T3_llPT2_llS6_lS5_lPT0_l
; %bb.0:
	s_load_dwordx16 s[8:23], s[4:5], 0x0
	s_mov_b64 s[34:35], 0
	s_waitcnt lgkmcnt(0)
	s_cmp_eq_u64 s[16:17], 0
	s_cbranch_scc1 .LBB10_2
; %bb.1:
	s_mul_i32 s0, s21, s7
	s_mul_hi_u32 s1, s20, s7
	s_add_i32 s1, s1, s0
	s_mul_i32 s0, s20, s7
	s_lshl_b64 s[0:1], s[0:1], 3
	s_add_u32 s2, s16, s0
	s_addc_u32 s3, s17, s1
	s_lshl_b64 s[0:1], s[18:19], 3
	s_add_u32 s34, s2, s0
	s_addc_u32 s35, s3, s1
.LBB10_2:
	s_load_dwordx8 s[24:31], s[4:5], 0x40
	s_load_dwordx2 s[16:17], s[4:5], 0x60
	s_add_u32 s4, s8, -1
	v_mov_b32_e32 v1, 0
	s_addc_u32 s5, s9, -1
	v_cmp_gt_i64_e64 s[0:1], s[4:5], v[0:1]
	v_mov_b32_e32 v2, 0
	v_mov_b32_e32 v4, 0
	;; [unrolled: 1-line block ×3, first 2 shown]
	s_waitcnt lgkmcnt(0)
	s_mul_i32 s33, s29, s7
	s_mul_hi_u32 s36, s28, s7
	v_mov_b32_e32 v5, 0
	s_mul_i32 s8, s28, s7
	s_and_saveexec_b64 s[18:19], s[0:1]
	s_cbranch_execz .LBB10_6
; %bb.3:
	v_mad_u64_u32 v[2:3], s[2:3], s26, v0, 0
	s_add_i32 s9, s36, s33
	s_lshl_b64 s[20:21], s[8:9], 4
	v_mad_u64_u32 v[3:4], s[2:3], s27, v0, v[3:4]
	s_lshl_b64 s[2:3], s[24:25], 4
	s_add_u32 s2, s22, s2
	s_addc_u32 s3, s23, s3
	v_lshlrev_b64 v[2:3], 4, v[2:3]
	s_add_u32 s2, s2, s20
	s_addc_u32 s3, s3, s21
	v_mov_b32_e32 v4, s3
	v_add_co_u32_e32 v6, vcc, s2, v2
	v_addc_co_u32_e32 v7, vcc, v4, v3, vcc
	s_lshl_b64 s[20:21], s[26:27], 10
	v_mov_b32_e32 v2, 0
	v_mov_b32_e32 v4, 0
	;; [unrolled: 1-line block ×4, first 2 shown]
	s_mov_b64 s[28:29], 0
	v_mov_b32_e32 v10, s21
	v_mov_b32_e32 v5, 0
	;; [unrolled: 1-line block ×3, first 2 shown]
.LBB10_4:                               ; =>This Inner Loop Header: Depth=1
	global_load_dwordx4 v[11:14], v[6:7], off
	v_add_co_u32_e32 v8, vcc, 64, v8
	v_addc_co_u32_e32 v9, vcc, 0, v9, vcc
	v_cmp_le_i64_e64 s[2:3], s[4:5], v[8:9]
	v_add_co_u32_e32 v6, vcc, s20, v6
	s_or_b64 s[28:29], s[2:3], s[28:29]
	v_addc_co_u32_e32 v7, vcc, v7, v10, vcc
	s_waitcnt vmcnt(0)
	v_mul_f64 v[15:16], v[13:14], v[13:14]
	v_mul_f64 v[17:18], v[11:12], v[13:14]
	v_fma_f64 v[15:16], v[11:12], v[11:12], v[15:16]
	v_fma_f64 v[11:12], v[11:12], v[13:14], -v[17:18]
	v_add_f64 v[4:5], v[4:5], v[15:16]
	v_add_f64 v[2:3], v[2:3], v[11:12]
	s_andn2_b64 exec, exec, s[28:29]
	s_cbranch_execnz .LBB10_4
; %bb.5:
	s_or_b64 exec, exec, s[28:29]
.LBB10_6:
	s_or_b64 exec, exec, s[18:19]
	v_mbcnt_lo_u32_b32 v6, -1, 0
	v_mbcnt_hi_u32_b32 v10, -1, v6
	v_and_b32_e32 v11, 63, v10
	v_cmp_ne_u32_e32 vcc, 63, v11
	v_addc_co_u32_e32 v6, vcc, 0, v10, vcc
	v_lshlrev_b32_e32 v9, 2, v6
	ds_bpermute_b32 v6, v9, v4
	ds_bpermute_b32 v7, v9, v5
	;; [unrolled: 1-line block ×4, first 2 shown]
	v_cmp_gt_u32_e32 vcc, 62, v11
	s_waitcnt lgkmcnt(2)
	v_add_f64 v[4:5], v[4:5], v[6:7]
	v_cndmask_b32_e64 v6, 0, 2, vcc
	s_waitcnt lgkmcnt(0)
	v_add_f64 v[2:3], v[2:3], v[8:9]
	v_add_lshl_u32 v9, v6, v10, 2
	v_cmp_gt_u32_e32 vcc, 60, v11
	ds_bpermute_b32 v6, v9, v4
	ds_bpermute_b32 v7, v9, v5
	ds_bpermute_b32 v8, v9, v2
	ds_bpermute_b32 v9, v9, v3
	s_waitcnt lgkmcnt(2)
	v_add_f64 v[4:5], v[4:5], v[6:7]
	v_cndmask_b32_e64 v6, 0, 4, vcc
	s_waitcnt lgkmcnt(0)
	v_add_f64 v[2:3], v[2:3], v[8:9]
	v_add_lshl_u32 v9, v6, v10, 2
	v_cmp_gt_u32_e32 vcc, 56, v11
	ds_bpermute_b32 v6, v9, v4
	ds_bpermute_b32 v7, v9, v5
	ds_bpermute_b32 v8, v9, v2
	ds_bpermute_b32 v9, v9, v3
	;; [unrolled: 11-line block ×3, first 2 shown]
	s_waitcnt lgkmcnt(2)
	v_add_f64 v[4:5], v[4:5], v[6:7]
	v_cndmask_b32_e64 v6, 0, 16, vcc
	s_waitcnt lgkmcnt(0)
	v_add_f64 v[2:3], v[2:3], v[8:9]
	v_add_lshl_u32 v9, v6, v10, 2
	v_cmp_eq_u32_e32 vcc, 0, v0
	ds_bpermute_b32 v6, v9, v4
	ds_bpermute_b32 v7, v9, v5
	;; [unrolled: 1-line block ×4, first 2 shown]
	s_waitcnt lgkmcnt(2)
	v_add_f64 v[4:5], v[4:5], v[6:7]
	s_waitcnt lgkmcnt(0)
	v_add_f64 v[6:7], v[2:3], v[8:9]
	v_mov_b32_e32 v2, 0x80
	v_lshl_or_b32 v9, v10, 2, v2
	ds_bpermute_b32 v2, v9, v4
	ds_bpermute_b32 v3, v9, v5
	;; [unrolled: 1-line block ×4, first 2 shown]
	s_waitcnt lgkmcnt(2)
	v_add_f64 v[2:3], v[4:5], v[2:3]
	s_waitcnt lgkmcnt(0)
	v_add_f64 v[4:5], v[6:7], v[8:9]
	s_and_saveexec_b64 s[2:3], vcc
; %bb.7:
	v_lshrrev_b32_e32 v6, 2, v0
	ds_write_b128 v6, v[2:5]
; %bb.8:
	s_or_b64 exec, exec, s[2:3]
	v_cmp_eq_u32_e32 vcc, 0, v0
	s_waitcnt lgkmcnt(0)
	; wave barrier
	s_and_saveexec_b64 s[2:3], vcc
; %bb.9:
	v_mov_b32_e32 v6, 0
	ds_write_b128 v6, v[2:5]
; %bb.10:
	s_or_b64 exec, exec, s[2:3]
	s_waitcnt lgkmcnt(0)
	; wave barrier
	s_and_saveexec_b64 s[2:3], vcc
	s_cbranch_execz .LBB10_20
; %bb.11:
	s_mul_i32 s6, s15, s7
	s_mul_hi_u32 s9, s14, s7
	s_add_i32 s15, s9, s6
	s_mul_i32 s14, s14, s7
	s_lshl_b64 s[14:15], s[14:15], 4
	s_add_u32 s6, s10, s14
	s_addc_u32 s9, s11, s15
	s_lshl_b64 s[10:11], s[12:13], 4
	s_add_u32 s10, s6, s10
	s_addc_u32 s11, s9, s11
	v_mov_b32_e32 v2, 0
	s_load_dwordx2 s[12:13], s[10:11], 0x8
	ds_read_b64 v[8:9], v2
	s_mul_i32 s6, s17, s7
	s_mul_hi_u32 s9, s16, s7
	s_add_i32 s15, s9, s6
	s_waitcnt lgkmcnt(0)
	v_mul_f64 v[6:7], s[12:13], s[12:13]
	v_max_f64 v[3:4], v[8:9], v[8:9]
	s_mul_i32 s14, s16, s7
	s_lshl_b64 s[6:7], s[14:15], 4
	s_add_u32 s16, s30, s6
	s_addc_u32 s17, s31, s7
	s_cmp_eq_u64 s[34:35], 0
	s_cselect_b64 s[14:15], -1, 0
	s_cmp_lg_u64 s[34:35], 0
	v_max_f64 v[3:4], v[3:4], v[6:7]
	s_mov_b64 s[18:19], 0
	s_cselect_b64 s[6:7], -1, 0
	v_cmp_nlt_f64_e32 vcc, 0, v[3:4]
	s_cbranch_vccz .LBB10_14
; %bb.12:
	v_mov_b32_e32 v3, 0x3ff00000
	v_mov_b32_e32 v4, v2
	;; [unrolled: 1-line block ×3, first 2 shown]
	ds_write_b128 v2, v[2:5]
	v_mov_b32_e32 v3, v2
	s_mov_b64 s[28:29], 0
	s_and_b64 vcc, exec, s[6:7]
	global_store_dwordx4 v2, v[2:5], s[16:17]
                                        ; implicit-def: $vgpr4_vgpr5
	s_cbranch_vccz .LBB10_15
; %bb.13:
	v_mov_b32_e32 v2, 0
	global_load_dwordx2 v[2:3], v2, s[10:11]
	s_mov_b64 s[20:21], -1
	s_and_b64 vcc, exec, s[28:29]
	s_cbranch_vccnz .LBB10_16
	s_branch .LBB10_17
.LBB10_14:
	s_mov_b64 s[28:29], -1
.LBB10_15:
	s_mov_b64 s[20:21], 0
                                        ; implicit-def: $vgpr2_vgpr3
	s_and_b64 vcc, exec, s[28:29]
	s_cbranch_vccz .LBB10_17
.LBB10_16:
	v_mov_b32_e32 v18, 0
	global_load_dwordx2 v[10:11], v18, s[10:11]
	s_mov_b32 s18, 0
	s_brev_b32 s19, 8
	s_mov_b64 s[20:21], s[6:7]
	s_waitcnt vmcnt(0)
	v_fma_f64 v[2:3], v[10:11], v[10:11], v[6:7]
	v_add_f64 v[2:3], v[8:9], v[2:3]
	v_cmp_gt_f64_e32 vcc, s[18:19], v[2:3]
	s_and_b64 s[18:19], vcc, exec
	s_cselect_b32 s9, 0x100, 0
	v_ldexp_f64 v[2:3], v[2:3], s9
	s_cselect_b32 s9, 0xffffff80, 0
	v_rsq_f64_e32 v[4:5], v[2:3]
	v_mul_f64 v[8:9], v[2:3], v[4:5]
	v_mul_f64 v[4:5], v[4:5], 0.5
	v_fma_f64 v[12:13], -v[4:5], v[8:9], 0.5
	v_fma_f64 v[8:9], v[8:9], v[12:13], v[8:9]
	v_fma_f64 v[4:5], v[4:5], v[12:13], v[4:5]
	v_fma_f64 v[14:15], -v[8:9], v[8:9], v[2:3]
	v_fma_f64 v[8:9], v[14:15], v[4:5], v[8:9]
	v_fma_f64 v[12:13], -v[8:9], v[8:9], v[2:3]
	v_fma_f64 v[4:5], v[12:13], v[4:5], v[8:9]
	v_mov_b32_e32 v8, 0x260
	v_cmp_class_f64_e32 vcc, v[2:3], v8
	v_ldexp_f64 v[4:5], v[4:5], s9
	v_cndmask_b32_e32 v2, v4, v2, vcc
	v_cndmask_b32_e32 v3, v5, v3, vcc
	v_cmp_le_f64_e32 vcc, 0, v[10:11]
	v_xor_b32_e32 v4, 0x80000000, v3
	v_cndmask_b32_e32 v3, v3, v4, vcc
	v_add_f64 v[4:5], v[10:11], -v[2:3]
	v_fma_f64 v[6:7], v[4:5], v[4:5], v[6:7]
	v_div_scale_f64 v[8:9], s[18:19], v[6:7], v[6:7], v[4:5]
	v_rcp_f64_e32 v[12:13], v[8:9]
	v_fma_f64 v[14:15], -v[8:9], v[12:13], 1.0
	v_fma_f64 v[12:13], v[12:13], v[14:15], v[12:13]
	v_fma_f64 v[14:15], -v[8:9], v[12:13], 1.0
	v_fma_f64 v[12:13], v[12:13], v[14:15], v[12:13]
	v_div_scale_f64 v[14:15], vcc, v[4:5], v[6:7], v[4:5]
	v_mul_f64 v[16:17], v[14:15], v[12:13]
	v_fma_f64 v[8:9], -v[8:9], v[16:17], v[14:15]
	s_nop 1
	v_div_fmas_f64 v[8:9], v[8:9], v[12:13], v[16:17]
	v_div_fixup_f64 v[4:5], v[8:9], v[6:7], v[4:5]
	v_div_scale_f64 v[8:9], s[18:19], v[6:7], v[6:7], -s[12:13]
	v_rcp_f64_e32 v[12:13], v[8:9]
	v_fma_f64 v[14:15], -v[8:9], v[12:13], 1.0
	v_fma_f64 v[12:13], v[12:13], v[14:15], v[12:13]
	v_fma_f64 v[14:15], -v[8:9], v[12:13], 1.0
	v_fma_f64 v[12:13], v[12:13], v[14:15], v[12:13]
	v_div_scale_f64 v[14:15], vcc, -s[12:13], v[6:7], -s[12:13]
	v_mul_f64 v[16:17], v[14:15], v[12:13]
	v_fma_f64 v[8:9], -v[8:9], v[16:17], v[14:15]
	s_nop 1
	v_div_fmas_f64 v[8:9], v[8:9], v[12:13], v[16:17]
	v_div_fixup_f64 v[6:7], v[8:9], v[6:7], -s[12:13]
	ds_write_b128 v18, v[4:7]
	v_add_f64 v[4:5], v[2:3], -v[10:11]
	v_div_scale_f64 v[6:7], s[18:19], v[2:3], v[2:3], v[4:5]
	v_rcp_f64_e32 v[8:9], v[6:7]
	v_fma_f64 v[10:11], -v[6:7], v[8:9], 1.0
	v_fma_f64 v[8:9], v[8:9], v[10:11], v[8:9]
	v_fma_f64 v[10:11], -v[6:7], v[8:9], 1.0
	v_fma_f64 v[8:9], v[8:9], v[10:11], v[8:9]
	v_div_scale_f64 v[10:11], vcc, v[4:5], v[2:3], v[4:5]
	v_mul_f64 v[12:13], v[10:11], v[8:9]
	v_fma_f64 v[6:7], -v[6:7], v[12:13], v[10:11]
	s_nop 1
	v_div_fmas_f64 v[6:7], v[6:7], v[8:9], v[12:13]
	v_div_fixup_f64 v[4:5], v[6:7], v[2:3], v[4:5]
	v_div_scale_f64 v[6:7], s[18:19], v[2:3], v[2:3], -s[12:13]
	s_mov_b64 s[18:19], s[14:15]
	v_rcp_f64_e32 v[8:9], v[6:7]
	v_fma_f64 v[10:11], -v[6:7], v[8:9], 1.0
	v_fma_f64 v[8:9], v[8:9], v[10:11], v[8:9]
	v_fma_f64 v[10:11], -v[6:7], v[8:9], 1.0
	v_fma_f64 v[8:9], v[8:9], v[10:11], v[8:9]
	v_div_scale_f64 v[10:11], vcc, -s[12:13], v[2:3], -s[12:13]
	v_mul_f64 v[12:13], v[10:11], v[8:9]
	v_fma_f64 v[6:7], -v[6:7], v[12:13], v[10:11]
	s_nop 1
	v_div_fmas_f64 v[6:7], v[6:7], v[8:9], v[12:13]
	v_div_fixup_f64 v[6:7], v[6:7], v[2:3], -s[12:13]
	global_store_dwordx4 v18, v[4:7], s[16:17]
.LBB10_17:
	s_andn2_b64 vcc, exec, s[20:21]
	s_cbranch_vccz .LBB10_24
; %bb.18:
	s_andn2_b64 vcc, exec, s[18:19]
	s_cbranch_vccnz .LBB10_20
.LBB10_19:
	v_mov_b32_e32 v4, 0
	v_mov_b32_e32 v5, v4
	s_waitcnt vmcnt(0)
	global_store_dwordx4 v4, v[2:5], s[10:11]
.LBB10_20:
	s_or_b64 exec, exec, s[2:3]
	s_waitcnt lgkmcnt(0)
	; wave barrier
	s_and_saveexec_b64 s[2:3], s[0:1]
	s_cbranch_execz .LBB10_23
; %bb.21:
	v_mad_u64_u32 v[6:7], s[0:1], s26, v0, 0
	s_waitcnt vmcnt(0)
	v_mov_b32_e32 v3, 0
	s_add_i32 s9, s36, s33
	v_mov_b32_e32 v2, v7
	v_mad_u64_u32 v[7:8], s[0:1], s27, v0, v[2:3]
	s_lshl_b64 s[0:1], s[8:9], 4
	s_lshl_b64 s[2:3], s[24:25], 4
	s_add_u32 s2, s22, s2
	s_addc_u32 s3, s23, s3
	v_lshlrev_b64 v[6:7], 4, v[6:7]
	s_add_u32 s0, s2, s0
	ds_read_b128 v[2:5], v3
	s_addc_u32 s1, s3, s1
	v_mov_b32_e32 v8, s1
	v_add_co_u32_e32 v6, vcc, s0, v6
	v_addc_co_u32_e32 v7, vcc, v8, v7, vcc
	v_add_co_u32_e32 v6, vcc, 8, v6
	s_lshl_b64 s[0:1], s[26:27], 10
	v_addc_co_u32_e32 v7, vcc, 0, v7, vcc
	s_mov_b64 s[2:3], 0
	v_mov_b32_e32 v8, s1
.LBB10_22:                              ; =>This Inner Loop Header: Depth=1
	global_load_dwordx4 v[9:12], v[6:7], off offset:-8
	v_add_co_u32_e32 v0, vcc, 64, v0
	v_addc_co_u32_e32 v1, vcc, 0, v1, vcc
	v_cmp_le_i64_e32 vcc, s[4:5], v[0:1]
	s_or_b64 s[2:3], vcc, s[2:3]
	s_waitcnt vmcnt(0) lgkmcnt(0)
	v_mul_f64 v[13:14], v[4:5], v[11:12]
	v_mul_f64 v[15:16], v[2:3], v[11:12]
	v_fma_f64 v[11:12], v[2:3], v[9:10], -v[13:14]
	v_fma_f64 v[13:14], v[4:5], v[9:10], v[15:16]
	global_store_dwordx4 v[6:7], v[11:14], off offset:-8
	v_add_co_u32_e32 v6, vcc, s0, v6
	v_addc_co_u32_e32 v7, vcc, v7, v8, vcc
	s_andn2_b64 exec, exec, s[2:3]
	s_cbranch_execnz .LBB10_22
.LBB10_23:
	s_endpgm
.LBB10_24:
	v_mov_b32_e32 v4, 0
	s_waitcnt vmcnt(0)
	global_store_dwordx2 v4, v[2:3], s[34:35]
	v_mov_b32_e32 v2, 0
	v_mov_b32_e32 v3, 0x3ff00000
	s_branch .LBB10_19
	.section	.rodata,"a",@progbits
	.p2align	6, 0x0
	.amdhsa_kernel _ZN9rocsolver6v33100L18larfg_kernel_smallILi64E19rocblas_complex_numIdEldPS3_EEvT1_T3_llPT2_llS6_lS5_lPT0_l
		.amdhsa_group_segment_fixed_size 16
		.amdhsa_private_segment_fixed_size 0
		.amdhsa_kernarg_size 104
		.amdhsa_user_sgpr_count 6
		.amdhsa_user_sgpr_private_segment_buffer 1
		.amdhsa_user_sgpr_dispatch_ptr 0
		.amdhsa_user_sgpr_queue_ptr 0
		.amdhsa_user_sgpr_kernarg_segment_ptr 1
		.amdhsa_user_sgpr_dispatch_id 0
		.amdhsa_user_sgpr_flat_scratch_init 0
		.amdhsa_user_sgpr_private_segment_size 0
		.amdhsa_uses_dynamic_stack 0
		.amdhsa_system_sgpr_private_segment_wavefront_offset 0
		.amdhsa_system_sgpr_workgroup_id_x 1
		.amdhsa_system_sgpr_workgroup_id_y 0
		.amdhsa_system_sgpr_workgroup_id_z 1
		.amdhsa_system_sgpr_workgroup_info 0
		.amdhsa_system_vgpr_workitem_id 0
		.amdhsa_next_free_vgpr 19
		.amdhsa_next_free_sgpr 37
		.amdhsa_reserve_vcc 1
		.amdhsa_reserve_flat_scratch 0
		.amdhsa_float_round_mode_32 0
		.amdhsa_float_round_mode_16_64 0
		.amdhsa_float_denorm_mode_32 3
		.amdhsa_float_denorm_mode_16_64 3
		.amdhsa_dx10_clamp 1
		.amdhsa_ieee_mode 1
		.amdhsa_fp16_overflow 0
		.amdhsa_exception_fp_ieee_invalid_op 0
		.amdhsa_exception_fp_denorm_src 0
		.amdhsa_exception_fp_ieee_div_zero 0
		.amdhsa_exception_fp_ieee_overflow 0
		.amdhsa_exception_fp_ieee_underflow 0
		.amdhsa_exception_fp_ieee_inexact 0
		.amdhsa_exception_int_div_zero 0
	.end_amdhsa_kernel
	.section	.text._ZN9rocsolver6v33100L18larfg_kernel_smallILi64E19rocblas_complex_numIdEldPS3_EEvT1_T3_llPT2_llS6_lS5_lPT0_l,"axG",@progbits,_ZN9rocsolver6v33100L18larfg_kernel_smallILi64E19rocblas_complex_numIdEldPS3_EEvT1_T3_llPT2_llS6_lS5_lPT0_l,comdat
.Lfunc_end10:
	.size	_ZN9rocsolver6v33100L18larfg_kernel_smallILi64E19rocblas_complex_numIdEldPS3_EEvT1_T3_llPT2_llS6_lS5_lPT0_l, .Lfunc_end10-_ZN9rocsolver6v33100L18larfg_kernel_smallILi64E19rocblas_complex_numIdEldPS3_EEvT1_T3_llPT2_llS6_lS5_lPT0_l
                                        ; -- End function
	.set _ZN9rocsolver6v33100L18larfg_kernel_smallILi64E19rocblas_complex_numIdEldPS3_EEvT1_T3_llPT2_llS6_lS5_lPT0_l.num_vgpr, 19
	.set _ZN9rocsolver6v33100L18larfg_kernel_smallILi64E19rocblas_complex_numIdEldPS3_EEvT1_T3_llPT2_llS6_lS5_lPT0_l.num_agpr, 0
	.set _ZN9rocsolver6v33100L18larfg_kernel_smallILi64E19rocblas_complex_numIdEldPS3_EEvT1_T3_llPT2_llS6_lS5_lPT0_l.numbered_sgpr, 37
	.set _ZN9rocsolver6v33100L18larfg_kernel_smallILi64E19rocblas_complex_numIdEldPS3_EEvT1_T3_llPT2_llS6_lS5_lPT0_l.num_named_barrier, 0
	.set _ZN9rocsolver6v33100L18larfg_kernel_smallILi64E19rocblas_complex_numIdEldPS3_EEvT1_T3_llPT2_llS6_lS5_lPT0_l.private_seg_size, 0
	.set _ZN9rocsolver6v33100L18larfg_kernel_smallILi64E19rocblas_complex_numIdEldPS3_EEvT1_T3_llPT2_llS6_lS5_lPT0_l.uses_vcc, 1
	.set _ZN9rocsolver6v33100L18larfg_kernel_smallILi64E19rocblas_complex_numIdEldPS3_EEvT1_T3_llPT2_llS6_lS5_lPT0_l.uses_flat_scratch, 0
	.set _ZN9rocsolver6v33100L18larfg_kernel_smallILi64E19rocblas_complex_numIdEldPS3_EEvT1_T3_llPT2_llS6_lS5_lPT0_l.has_dyn_sized_stack, 0
	.set _ZN9rocsolver6v33100L18larfg_kernel_smallILi64E19rocblas_complex_numIdEldPS3_EEvT1_T3_llPT2_llS6_lS5_lPT0_l.has_recursion, 0
	.set _ZN9rocsolver6v33100L18larfg_kernel_smallILi64E19rocblas_complex_numIdEldPS3_EEvT1_T3_llPT2_llS6_lS5_lPT0_l.has_indirect_call, 0
	.section	.AMDGPU.csdata,"",@progbits
; Kernel info:
; codeLenInByte = 1976
; TotalNumSgprs: 41
; NumVgprs: 19
; ScratchSize: 0
; MemoryBound: 0
; FloatMode: 240
; IeeeMode: 1
; LDSByteSize: 16 bytes/workgroup (compile time only)
; SGPRBlocks: 5
; VGPRBlocks: 4
; NumSGPRsForWavesPerEU: 41
; NumVGPRsForWavesPerEU: 19
; Occupancy: 10
; WaveLimiterHint : 0
; COMPUTE_PGM_RSRC2:SCRATCH_EN: 0
; COMPUTE_PGM_RSRC2:USER_SGPR: 6
; COMPUTE_PGM_RSRC2:TRAP_HANDLER: 0
; COMPUTE_PGM_RSRC2:TGID_X_EN: 1
; COMPUTE_PGM_RSRC2:TGID_Y_EN: 0
; COMPUTE_PGM_RSRC2:TGID_Z_EN: 1
; COMPUTE_PGM_RSRC2:TIDIG_COMP_CNT: 0
	.section	.text._ZN9rocsolver6v33100L18larfg_kernel_smallILi128E19rocblas_complex_numIdEldPS3_EEvT1_T3_llPT2_llS6_lS5_lPT0_l,"axG",@progbits,_ZN9rocsolver6v33100L18larfg_kernel_smallILi128E19rocblas_complex_numIdEldPS3_EEvT1_T3_llPT2_llS6_lS5_lPT0_l,comdat
	.globl	_ZN9rocsolver6v33100L18larfg_kernel_smallILi128E19rocblas_complex_numIdEldPS3_EEvT1_T3_llPT2_llS6_lS5_lPT0_l ; -- Begin function _ZN9rocsolver6v33100L18larfg_kernel_smallILi128E19rocblas_complex_numIdEldPS3_EEvT1_T3_llPT2_llS6_lS5_lPT0_l
	.p2align	8
	.type	_ZN9rocsolver6v33100L18larfg_kernel_smallILi128E19rocblas_complex_numIdEldPS3_EEvT1_T3_llPT2_llS6_lS5_lPT0_l,@function
_ZN9rocsolver6v33100L18larfg_kernel_smallILi128E19rocblas_complex_numIdEldPS3_EEvT1_T3_llPT2_llS6_lS5_lPT0_l: ; @_ZN9rocsolver6v33100L18larfg_kernel_smallILi128E19rocblas_complex_numIdEldPS3_EEvT1_T3_llPT2_llS6_lS5_lPT0_l
; %bb.0:
	s_load_dwordx16 s[8:23], s[4:5], 0x0
	s_mov_b64 s[34:35], 0
	s_waitcnt lgkmcnt(0)
	s_cmp_eq_u64 s[16:17], 0
	s_cbranch_scc1 .LBB11_2
; %bb.1:
	s_mul_i32 s0, s21, s7
	s_mul_hi_u32 s1, s20, s7
	s_add_i32 s1, s1, s0
	s_mul_i32 s0, s20, s7
	s_lshl_b64 s[0:1], s[0:1], 3
	s_add_u32 s2, s16, s0
	s_addc_u32 s3, s17, s1
	s_lshl_b64 s[0:1], s[18:19], 3
	s_add_u32 s34, s2, s0
	s_addc_u32 s35, s3, s1
.LBB11_2:
	s_load_dwordx8 s[24:31], s[4:5], 0x40
	s_load_dwordx2 s[16:17], s[4:5], 0x60
	s_add_u32 s4, s8, -1
	v_mov_b32_e32 v1, 0
	s_addc_u32 s5, s9, -1
	v_cmp_gt_i64_e64 s[0:1], s[4:5], v[0:1]
	v_mov_b32_e32 v2, 0
	v_mov_b32_e32 v4, 0
	;; [unrolled: 1-line block ×3, first 2 shown]
	s_waitcnt lgkmcnt(0)
	s_mul_i32 s33, s29, s7
	s_mul_hi_u32 s36, s28, s7
	v_mov_b32_e32 v5, 0
	s_mul_i32 s8, s28, s7
	s_and_saveexec_b64 s[18:19], s[0:1]
	s_cbranch_execz .LBB11_6
; %bb.3:
	v_mad_u64_u32 v[2:3], s[2:3], s26, v0, 0
	s_add_i32 s9, s36, s33
	s_lshl_b64 s[20:21], s[8:9], 4
	v_mad_u64_u32 v[3:4], s[2:3], s27, v0, v[3:4]
	s_lshl_b64 s[2:3], s[24:25], 4
	s_add_u32 s2, s22, s2
	s_addc_u32 s3, s23, s3
	v_lshlrev_b64 v[2:3], 4, v[2:3]
	s_add_u32 s2, s2, s20
	s_addc_u32 s3, s3, s21
	v_mov_b32_e32 v4, s3
	v_add_co_u32_e32 v6, vcc, s2, v2
	v_addc_co_u32_e32 v7, vcc, v4, v3, vcc
	s_lshl_b64 s[20:21], s[26:27], 11
	v_mov_b32_e32 v2, 0
	v_mov_b32_e32 v4, 0
	v_mov_b32_e32 v9, v1
	v_mov_b32_e32 v3, 0
	s_mov_b64 s[28:29], 0
	v_mov_b32_e32 v10, s21
	v_mov_b32_e32 v5, 0
	;; [unrolled: 1-line block ×3, first 2 shown]
.LBB11_4:                               ; =>This Inner Loop Header: Depth=1
	global_load_dwordx4 v[11:14], v[6:7], off
	v_add_co_u32_e32 v8, vcc, 0x80, v8
	v_addc_co_u32_e32 v9, vcc, 0, v9, vcc
	v_cmp_le_i64_e32 vcc, s[4:5], v[8:9]
	v_add_co_u32_e64 v6, s[2:3], s20, v6
	s_or_b64 s[28:29], vcc, s[28:29]
	v_addc_co_u32_e64 v7, vcc, v7, v10, s[2:3]
	s_waitcnt vmcnt(0)
	v_mul_f64 v[15:16], v[13:14], v[13:14]
	v_mul_f64 v[17:18], v[11:12], v[13:14]
	v_fma_f64 v[15:16], v[11:12], v[11:12], v[15:16]
	v_fma_f64 v[11:12], v[11:12], v[13:14], -v[17:18]
	v_add_f64 v[4:5], v[4:5], v[15:16]
	v_add_f64 v[2:3], v[2:3], v[11:12]
	s_andn2_b64 exec, exec, s[28:29]
	s_cbranch_execnz .LBB11_4
; %bb.5:
	s_or_b64 exec, exec, s[28:29]
.LBB11_6:
	s_or_b64 exec, exec, s[18:19]
	v_mbcnt_lo_u32_b32 v6, -1, 0
	v_mbcnt_hi_u32_b32 v10, -1, v6
	v_and_b32_e32 v11, 63, v10
	v_cmp_ne_u32_e32 vcc, 63, v11
	v_addc_co_u32_e32 v6, vcc, 0, v10, vcc
	v_lshlrev_b32_e32 v9, 2, v6
	ds_bpermute_b32 v6, v9, v4
	ds_bpermute_b32 v7, v9, v5
	;; [unrolled: 1-line block ×4, first 2 shown]
	v_cmp_gt_u32_e32 vcc, 62, v11
	s_waitcnt lgkmcnt(2)
	v_add_f64 v[4:5], v[4:5], v[6:7]
	v_cndmask_b32_e64 v6, 0, 2, vcc
	s_waitcnt lgkmcnt(0)
	v_add_f64 v[2:3], v[2:3], v[8:9]
	v_add_lshl_u32 v9, v6, v10, 2
	v_cmp_gt_u32_e32 vcc, 60, v11
	ds_bpermute_b32 v6, v9, v4
	ds_bpermute_b32 v7, v9, v5
	ds_bpermute_b32 v8, v9, v2
	ds_bpermute_b32 v9, v9, v3
	s_waitcnt lgkmcnt(2)
	v_add_f64 v[4:5], v[4:5], v[6:7]
	v_cndmask_b32_e64 v6, 0, 4, vcc
	s_waitcnt lgkmcnt(0)
	v_add_f64 v[2:3], v[2:3], v[8:9]
	v_add_lshl_u32 v9, v6, v10, 2
	v_cmp_gt_u32_e32 vcc, 56, v11
	ds_bpermute_b32 v6, v9, v4
	ds_bpermute_b32 v7, v9, v5
	ds_bpermute_b32 v8, v9, v2
	ds_bpermute_b32 v9, v9, v3
	;; [unrolled: 11-line block ×3, first 2 shown]
	s_waitcnt lgkmcnt(2)
	v_add_f64 v[4:5], v[4:5], v[6:7]
	v_cndmask_b32_e64 v6, 0, 16, vcc
	s_waitcnt lgkmcnt(0)
	v_add_f64 v[2:3], v[2:3], v[8:9]
	v_add_lshl_u32 v9, v6, v10, 2
	ds_bpermute_b32 v6, v9, v4
	ds_bpermute_b32 v7, v9, v5
	;; [unrolled: 1-line block ×4, first 2 shown]
	s_waitcnt lgkmcnt(2)
	v_add_f64 v[4:5], v[4:5], v[6:7]
	s_waitcnt lgkmcnt(0)
	v_add_f64 v[6:7], v[2:3], v[8:9]
	v_mov_b32_e32 v2, 0x80
	v_lshl_or_b32 v9, v10, 2, v2
	ds_bpermute_b32 v2, v9, v4
	ds_bpermute_b32 v3, v9, v5
	ds_bpermute_b32 v8, v9, v6
	ds_bpermute_b32 v9, v9, v7
	s_waitcnt lgkmcnt(2)
	v_add_f64 v[2:3], v[4:5], v[2:3]
	s_waitcnt lgkmcnt(0)
	v_add_f64 v[4:5], v[6:7], v[8:9]
	v_and_b32_e32 v6, 63, v0
	v_cmp_eq_u32_e32 vcc, 0, v6
	s_and_saveexec_b64 s[2:3], vcc
; %bb.7:
	v_lshrrev_b32_e32 v6, 2, v0
	ds_write_b128 v6, v[2:5]
; %bb.8:
	s_or_b64 exec, exec, s[2:3]
	v_cmp_eq_u32_e32 vcc, 0, v0
	s_waitcnt lgkmcnt(0)
	s_barrier
	s_and_saveexec_b64 s[2:3], vcc
	s_cbranch_execz .LBB11_10
; %bb.9:
	v_mov_b32_e32 v10, 0
	ds_read_b128 v[6:9], v10 offset:16
	s_waitcnt lgkmcnt(0)
	v_add_f64 v[4:5], v[4:5], v[8:9]
	v_add_f64 v[2:3], v[2:3], v[6:7]
	ds_write_b128 v10, v[2:5]
.LBB11_10:
	s_or_b64 exec, exec, s[2:3]
	s_waitcnt lgkmcnt(0)
	s_barrier
	s_and_saveexec_b64 s[2:3], vcc
	s_cbranch_execz .LBB11_20
; %bb.11:
	s_mul_i32 s6, s15, s7
	s_mul_hi_u32 s9, s14, s7
	s_add_i32 s15, s9, s6
	s_mul_i32 s14, s14, s7
	s_lshl_b64 s[14:15], s[14:15], 4
	s_add_u32 s6, s10, s14
	s_addc_u32 s9, s11, s15
	s_lshl_b64 s[10:11], s[12:13], 4
	s_add_u32 s10, s6, s10
	s_addc_u32 s11, s9, s11
	v_mov_b32_e32 v2, 0
	s_load_dwordx2 s[12:13], s[10:11], 0x8
	ds_read_b64 v[8:9], v2
	s_mul_i32 s6, s17, s7
	s_mul_hi_u32 s9, s16, s7
	s_add_i32 s15, s9, s6
	s_waitcnt lgkmcnt(0)
	v_mul_f64 v[6:7], s[12:13], s[12:13]
	v_max_f64 v[3:4], v[8:9], v[8:9]
	s_mul_i32 s14, s16, s7
	s_lshl_b64 s[6:7], s[14:15], 4
	s_add_u32 s16, s30, s6
	s_addc_u32 s17, s31, s7
	s_cmp_eq_u64 s[34:35], 0
	s_cselect_b64 s[14:15], -1, 0
	s_cmp_lg_u64 s[34:35], 0
	v_max_f64 v[3:4], v[3:4], v[6:7]
	s_mov_b64 s[18:19], 0
	s_cselect_b64 s[6:7], -1, 0
	v_cmp_nlt_f64_e32 vcc, 0, v[3:4]
	s_cbranch_vccz .LBB11_14
; %bb.12:
	v_mov_b32_e32 v3, 0x3ff00000
	v_mov_b32_e32 v4, v2
	;; [unrolled: 1-line block ×3, first 2 shown]
	ds_write_b128 v2, v[2:5]
	v_mov_b32_e32 v3, v2
	s_mov_b64 s[28:29], 0
	s_and_b64 vcc, exec, s[6:7]
	global_store_dwordx4 v2, v[2:5], s[16:17]
                                        ; implicit-def: $vgpr4_vgpr5
	s_cbranch_vccz .LBB11_15
; %bb.13:
	v_mov_b32_e32 v2, 0
	global_load_dwordx2 v[2:3], v2, s[10:11]
	s_mov_b64 s[20:21], -1
	s_and_b64 vcc, exec, s[28:29]
	s_cbranch_vccnz .LBB11_16
	s_branch .LBB11_17
.LBB11_14:
	s_mov_b64 s[28:29], -1
.LBB11_15:
	s_mov_b64 s[20:21], 0
                                        ; implicit-def: $vgpr2_vgpr3
	s_and_b64 vcc, exec, s[28:29]
	s_cbranch_vccz .LBB11_17
.LBB11_16:
	v_mov_b32_e32 v18, 0
	global_load_dwordx2 v[10:11], v18, s[10:11]
	s_mov_b32 s18, 0
	s_brev_b32 s19, 8
	s_mov_b64 s[20:21], s[6:7]
	s_waitcnt vmcnt(0)
	v_fma_f64 v[2:3], v[10:11], v[10:11], v[6:7]
	v_add_f64 v[2:3], v[8:9], v[2:3]
	v_cmp_gt_f64_e32 vcc, s[18:19], v[2:3]
	s_and_b64 s[18:19], vcc, exec
	s_cselect_b32 s9, 0x100, 0
	v_ldexp_f64 v[2:3], v[2:3], s9
	s_cselect_b32 s9, 0xffffff80, 0
	v_rsq_f64_e32 v[4:5], v[2:3]
	v_mul_f64 v[8:9], v[2:3], v[4:5]
	v_mul_f64 v[4:5], v[4:5], 0.5
	v_fma_f64 v[12:13], -v[4:5], v[8:9], 0.5
	v_fma_f64 v[8:9], v[8:9], v[12:13], v[8:9]
	v_fma_f64 v[4:5], v[4:5], v[12:13], v[4:5]
	v_fma_f64 v[14:15], -v[8:9], v[8:9], v[2:3]
	v_fma_f64 v[8:9], v[14:15], v[4:5], v[8:9]
	v_fma_f64 v[12:13], -v[8:9], v[8:9], v[2:3]
	v_fma_f64 v[4:5], v[12:13], v[4:5], v[8:9]
	v_mov_b32_e32 v8, 0x260
	v_cmp_class_f64_e32 vcc, v[2:3], v8
	v_ldexp_f64 v[4:5], v[4:5], s9
	v_cndmask_b32_e32 v2, v4, v2, vcc
	v_cndmask_b32_e32 v3, v5, v3, vcc
	v_cmp_le_f64_e32 vcc, 0, v[10:11]
	v_xor_b32_e32 v4, 0x80000000, v3
	v_cndmask_b32_e32 v3, v3, v4, vcc
	v_add_f64 v[4:5], v[10:11], -v[2:3]
	v_fma_f64 v[6:7], v[4:5], v[4:5], v[6:7]
	v_div_scale_f64 v[8:9], s[18:19], v[6:7], v[6:7], v[4:5]
	v_rcp_f64_e32 v[12:13], v[8:9]
	v_fma_f64 v[14:15], -v[8:9], v[12:13], 1.0
	v_fma_f64 v[12:13], v[12:13], v[14:15], v[12:13]
	v_fma_f64 v[14:15], -v[8:9], v[12:13], 1.0
	v_fma_f64 v[12:13], v[12:13], v[14:15], v[12:13]
	v_div_scale_f64 v[14:15], vcc, v[4:5], v[6:7], v[4:5]
	v_mul_f64 v[16:17], v[14:15], v[12:13]
	v_fma_f64 v[8:9], -v[8:9], v[16:17], v[14:15]
	s_nop 1
	v_div_fmas_f64 v[8:9], v[8:9], v[12:13], v[16:17]
	v_div_fixup_f64 v[4:5], v[8:9], v[6:7], v[4:5]
	v_div_scale_f64 v[8:9], s[18:19], v[6:7], v[6:7], -s[12:13]
	v_rcp_f64_e32 v[12:13], v[8:9]
	v_fma_f64 v[14:15], -v[8:9], v[12:13], 1.0
	v_fma_f64 v[12:13], v[12:13], v[14:15], v[12:13]
	v_fma_f64 v[14:15], -v[8:9], v[12:13], 1.0
	v_fma_f64 v[12:13], v[12:13], v[14:15], v[12:13]
	v_div_scale_f64 v[14:15], vcc, -s[12:13], v[6:7], -s[12:13]
	v_mul_f64 v[16:17], v[14:15], v[12:13]
	v_fma_f64 v[8:9], -v[8:9], v[16:17], v[14:15]
	s_nop 1
	v_div_fmas_f64 v[8:9], v[8:9], v[12:13], v[16:17]
	v_div_fixup_f64 v[6:7], v[8:9], v[6:7], -s[12:13]
	ds_write_b128 v18, v[4:7]
	v_add_f64 v[4:5], v[2:3], -v[10:11]
	v_div_scale_f64 v[6:7], s[18:19], v[2:3], v[2:3], v[4:5]
	v_rcp_f64_e32 v[8:9], v[6:7]
	v_fma_f64 v[10:11], -v[6:7], v[8:9], 1.0
	v_fma_f64 v[8:9], v[8:9], v[10:11], v[8:9]
	v_fma_f64 v[10:11], -v[6:7], v[8:9], 1.0
	v_fma_f64 v[8:9], v[8:9], v[10:11], v[8:9]
	v_div_scale_f64 v[10:11], vcc, v[4:5], v[2:3], v[4:5]
	v_mul_f64 v[12:13], v[10:11], v[8:9]
	v_fma_f64 v[6:7], -v[6:7], v[12:13], v[10:11]
	s_nop 1
	v_div_fmas_f64 v[6:7], v[6:7], v[8:9], v[12:13]
	v_div_fixup_f64 v[4:5], v[6:7], v[2:3], v[4:5]
	v_div_scale_f64 v[6:7], s[18:19], v[2:3], v[2:3], -s[12:13]
	s_mov_b64 s[18:19], s[14:15]
	v_rcp_f64_e32 v[8:9], v[6:7]
	v_fma_f64 v[10:11], -v[6:7], v[8:9], 1.0
	v_fma_f64 v[8:9], v[8:9], v[10:11], v[8:9]
	v_fma_f64 v[10:11], -v[6:7], v[8:9], 1.0
	v_fma_f64 v[8:9], v[8:9], v[10:11], v[8:9]
	v_div_scale_f64 v[10:11], vcc, -s[12:13], v[2:3], -s[12:13]
	v_mul_f64 v[12:13], v[10:11], v[8:9]
	v_fma_f64 v[6:7], -v[6:7], v[12:13], v[10:11]
	s_nop 1
	v_div_fmas_f64 v[6:7], v[6:7], v[8:9], v[12:13]
	v_div_fixup_f64 v[6:7], v[6:7], v[2:3], -s[12:13]
	global_store_dwordx4 v18, v[4:7], s[16:17]
.LBB11_17:
	s_andn2_b64 vcc, exec, s[20:21]
	s_cbranch_vccz .LBB11_24
; %bb.18:
	s_andn2_b64 vcc, exec, s[18:19]
	s_cbranch_vccnz .LBB11_20
.LBB11_19:
	v_mov_b32_e32 v4, 0
	v_mov_b32_e32 v5, v4
	s_waitcnt vmcnt(0)
	global_store_dwordx4 v4, v[2:5], s[10:11]
.LBB11_20:
	s_or_b64 exec, exec, s[2:3]
	s_waitcnt vmcnt(0) lgkmcnt(0)
	s_barrier
	s_and_saveexec_b64 s[2:3], s[0:1]
	s_cbranch_execz .LBB11_23
; %bb.21:
	v_mad_u64_u32 v[6:7], s[0:1], s26, v0, 0
	v_mov_b32_e32 v3, 0
	s_add_i32 s9, s36, s33
	v_mov_b32_e32 v2, v7
	v_mad_u64_u32 v[7:8], s[0:1], s27, v0, v[2:3]
	s_lshl_b64 s[0:1], s[8:9], 4
	s_lshl_b64 s[2:3], s[24:25], 4
	s_add_u32 s2, s22, s2
	s_addc_u32 s3, s23, s3
	v_lshlrev_b64 v[6:7], 4, v[6:7]
	s_add_u32 s0, s2, s0
	ds_read_b128 v[2:5], v3
	s_addc_u32 s1, s3, s1
	v_mov_b32_e32 v8, s1
	v_add_co_u32_e32 v6, vcc, s0, v6
	v_addc_co_u32_e32 v7, vcc, v8, v7, vcc
	v_add_co_u32_e32 v6, vcc, 8, v6
	s_lshl_b64 s[0:1], s[26:27], 11
	v_addc_co_u32_e32 v7, vcc, 0, v7, vcc
	s_mov_b64 s[2:3], 0
	v_mov_b32_e32 v8, s1
.LBB11_22:                              ; =>This Inner Loop Header: Depth=1
	global_load_dwordx4 v[9:12], v[6:7], off offset:-8
	v_add_co_u32_e32 v0, vcc, 0x80, v0
	v_addc_co_u32_e32 v1, vcc, 0, v1, vcc
	v_cmp_le_i64_e32 vcc, s[4:5], v[0:1]
	s_or_b64 s[2:3], vcc, s[2:3]
	s_waitcnt vmcnt(0) lgkmcnt(0)
	v_mul_f64 v[13:14], v[4:5], v[11:12]
	v_mul_f64 v[15:16], v[2:3], v[11:12]
	v_fma_f64 v[11:12], v[2:3], v[9:10], -v[13:14]
	v_fma_f64 v[13:14], v[4:5], v[9:10], v[15:16]
	global_store_dwordx4 v[6:7], v[11:14], off offset:-8
	v_add_co_u32_e32 v6, vcc, s0, v6
	v_addc_co_u32_e32 v7, vcc, v7, v8, vcc
	s_andn2_b64 exec, exec, s[2:3]
	s_cbranch_execnz .LBB11_22
.LBB11_23:
	s_endpgm
.LBB11_24:
	v_mov_b32_e32 v4, 0
	s_waitcnt vmcnt(0)
	global_store_dwordx2 v4, v[2:3], s[34:35]
	v_mov_b32_e32 v2, 0
	v_mov_b32_e32 v3, 0x3ff00000
	s_branch .LBB11_19
	.section	.rodata,"a",@progbits
	.p2align	6, 0x0
	.amdhsa_kernel _ZN9rocsolver6v33100L18larfg_kernel_smallILi128E19rocblas_complex_numIdEldPS3_EEvT1_T3_llPT2_llS6_lS5_lPT0_l
		.amdhsa_group_segment_fixed_size 32
		.amdhsa_private_segment_fixed_size 0
		.amdhsa_kernarg_size 104
		.amdhsa_user_sgpr_count 6
		.amdhsa_user_sgpr_private_segment_buffer 1
		.amdhsa_user_sgpr_dispatch_ptr 0
		.amdhsa_user_sgpr_queue_ptr 0
		.amdhsa_user_sgpr_kernarg_segment_ptr 1
		.amdhsa_user_sgpr_dispatch_id 0
		.amdhsa_user_sgpr_flat_scratch_init 0
		.amdhsa_user_sgpr_private_segment_size 0
		.amdhsa_uses_dynamic_stack 0
		.amdhsa_system_sgpr_private_segment_wavefront_offset 0
		.amdhsa_system_sgpr_workgroup_id_x 1
		.amdhsa_system_sgpr_workgroup_id_y 0
		.amdhsa_system_sgpr_workgroup_id_z 1
		.amdhsa_system_sgpr_workgroup_info 0
		.amdhsa_system_vgpr_workitem_id 0
		.amdhsa_next_free_vgpr 19
		.amdhsa_next_free_sgpr 37
		.amdhsa_reserve_vcc 1
		.amdhsa_reserve_flat_scratch 0
		.amdhsa_float_round_mode_32 0
		.amdhsa_float_round_mode_16_64 0
		.amdhsa_float_denorm_mode_32 3
		.amdhsa_float_denorm_mode_16_64 3
		.amdhsa_dx10_clamp 1
		.amdhsa_ieee_mode 1
		.amdhsa_fp16_overflow 0
		.amdhsa_exception_fp_ieee_invalid_op 0
		.amdhsa_exception_fp_denorm_src 0
		.amdhsa_exception_fp_ieee_div_zero 0
		.amdhsa_exception_fp_ieee_overflow 0
		.amdhsa_exception_fp_ieee_underflow 0
		.amdhsa_exception_fp_ieee_inexact 0
		.amdhsa_exception_int_div_zero 0
	.end_amdhsa_kernel
	.section	.text._ZN9rocsolver6v33100L18larfg_kernel_smallILi128E19rocblas_complex_numIdEldPS3_EEvT1_T3_llPT2_llS6_lS5_lPT0_l,"axG",@progbits,_ZN9rocsolver6v33100L18larfg_kernel_smallILi128E19rocblas_complex_numIdEldPS3_EEvT1_T3_llPT2_llS6_lS5_lPT0_l,comdat
.Lfunc_end11:
	.size	_ZN9rocsolver6v33100L18larfg_kernel_smallILi128E19rocblas_complex_numIdEldPS3_EEvT1_T3_llPT2_llS6_lS5_lPT0_l, .Lfunc_end11-_ZN9rocsolver6v33100L18larfg_kernel_smallILi128E19rocblas_complex_numIdEldPS3_EEvT1_T3_llPT2_llS6_lS5_lPT0_l
                                        ; -- End function
	.set _ZN9rocsolver6v33100L18larfg_kernel_smallILi128E19rocblas_complex_numIdEldPS3_EEvT1_T3_llPT2_llS6_lS5_lPT0_l.num_vgpr, 19
	.set _ZN9rocsolver6v33100L18larfg_kernel_smallILi128E19rocblas_complex_numIdEldPS3_EEvT1_T3_llPT2_llS6_lS5_lPT0_l.num_agpr, 0
	.set _ZN9rocsolver6v33100L18larfg_kernel_smallILi128E19rocblas_complex_numIdEldPS3_EEvT1_T3_llPT2_llS6_lS5_lPT0_l.numbered_sgpr, 37
	.set _ZN9rocsolver6v33100L18larfg_kernel_smallILi128E19rocblas_complex_numIdEldPS3_EEvT1_T3_llPT2_llS6_lS5_lPT0_l.num_named_barrier, 0
	.set _ZN9rocsolver6v33100L18larfg_kernel_smallILi128E19rocblas_complex_numIdEldPS3_EEvT1_T3_llPT2_llS6_lS5_lPT0_l.private_seg_size, 0
	.set _ZN9rocsolver6v33100L18larfg_kernel_smallILi128E19rocblas_complex_numIdEldPS3_EEvT1_T3_llPT2_llS6_lS5_lPT0_l.uses_vcc, 1
	.set _ZN9rocsolver6v33100L18larfg_kernel_smallILi128E19rocblas_complex_numIdEldPS3_EEvT1_T3_llPT2_llS6_lS5_lPT0_l.uses_flat_scratch, 0
	.set _ZN9rocsolver6v33100L18larfg_kernel_smallILi128E19rocblas_complex_numIdEldPS3_EEvT1_T3_llPT2_llS6_lS5_lPT0_l.has_dyn_sized_stack, 0
	.set _ZN9rocsolver6v33100L18larfg_kernel_smallILi128E19rocblas_complex_numIdEldPS3_EEvT1_T3_llPT2_llS6_lS5_lPT0_l.has_recursion, 0
	.set _ZN9rocsolver6v33100L18larfg_kernel_smallILi128E19rocblas_complex_numIdEldPS3_EEvT1_T3_llPT2_llS6_lS5_lPT0_l.has_indirect_call, 0
	.section	.AMDGPU.csdata,"",@progbits
; Kernel info:
; codeLenInByte = 2032
; TotalNumSgprs: 41
; NumVgprs: 19
; ScratchSize: 0
; MemoryBound: 0
; FloatMode: 240
; IeeeMode: 1
; LDSByteSize: 32 bytes/workgroup (compile time only)
; SGPRBlocks: 5
; VGPRBlocks: 4
; NumSGPRsForWavesPerEU: 41
; NumVGPRsForWavesPerEU: 19
; Occupancy: 10
; WaveLimiterHint : 0
; COMPUTE_PGM_RSRC2:SCRATCH_EN: 0
; COMPUTE_PGM_RSRC2:USER_SGPR: 6
; COMPUTE_PGM_RSRC2:TRAP_HANDLER: 0
; COMPUTE_PGM_RSRC2:TGID_X_EN: 1
; COMPUTE_PGM_RSRC2:TGID_Y_EN: 0
; COMPUTE_PGM_RSRC2:TGID_Z_EN: 1
; COMPUTE_PGM_RSRC2:TIDIG_COMP_CNT: 0
	.section	.text._ZN9rocsolver6v33100L18larfg_kernel_smallILi256E19rocblas_complex_numIdEldPS3_EEvT1_T3_llPT2_llS6_lS5_lPT0_l,"axG",@progbits,_ZN9rocsolver6v33100L18larfg_kernel_smallILi256E19rocblas_complex_numIdEldPS3_EEvT1_T3_llPT2_llS6_lS5_lPT0_l,comdat
	.globl	_ZN9rocsolver6v33100L18larfg_kernel_smallILi256E19rocblas_complex_numIdEldPS3_EEvT1_T3_llPT2_llS6_lS5_lPT0_l ; -- Begin function _ZN9rocsolver6v33100L18larfg_kernel_smallILi256E19rocblas_complex_numIdEldPS3_EEvT1_T3_llPT2_llS6_lS5_lPT0_l
	.p2align	8
	.type	_ZN9rocsolver6v33100L18larfg_kernel_smallILi256E19rocblas_complex_numIdEldPS3_EEvT1_T3_llPT2_llS6_lS5_lPT0_l,@function
_ZN9rocsolver6v33100L18larfg_kernel_smallILi256E19rocblas_complex_numIdEldPS3_EEvT1_T3_llPT2_llS6_lS5_lPT0_l: ; @_ZN9rocsolver6v33100L18larfg_kernel_smallILi256E19rocblas_complex_numIdEldPS3_EEvT1_T3_llPT2_llS6_lS5_lPT0_l
; %bb.0:
	s_load_dwordx16 s[8:23], s[4:5], 0x0
	s_mov_b64 s[34:35], 0
	s_waitcnt lgkmcnt(0)
	s_cmp_eq_u64 s[16:17], 0
	s_cbranch_scc1 .LBB12_2
; %bb.1:
	s_mul_i32 s0, s21, s7
	s_mul_hi_u32 s1, s20, s7
	s_add_i32 s1, s1, s0
	s_mul_i32 s0, s20, s7
	s_lshl_b64 s[0:1], s[0:1], 3
	s_add_u32 s2, s16, s0
	s_addc_u32 s3, s17, s1
	s_lshl_b64 s[0:1], s[18:19], 3
	s_add_u32 s34, s2, s0
	s_addc_u32 s35, s3, s1
.LBB12_2:
	s_load_dwordx8 s[24:31], s[4:5], 0x40
	s_load_dwordx2 s[16:17], s[4:5], 0x60
	s_add_u32 s4, s8, -1
	v_mov_b32_e32 v1, 0
	s_addc_u32 s5, s9, -1
	v_cmp_gt_i64_e64 s[0:1], s[4:5], v[0:1]
	v_mov_b32_e32 v2, 0
	v_mov_b32_e32 v4, 0
	;; [unrolled: 1-line block ×3, first 2 shown]
	s_waitcnt lgkmcnt(0)
	s_mul_i32 s33, s29, s7
	s_mul_hi_u32 s36, s28, s7
	v_mov_b32_e32 v5, 0
	s_mul_i32 s8, s28, s7
	s_and_saveexec_b64 s[18:19], s[0:1]
	s_cbranch_execz .LBB12_6
; %bb.3:
	v_mad_u64_u32 v[2:3], s[2:3], s26, v0, 0
	s_add_i32 s9, s36, s33
	s_lshl_b64 s[20:21], s[8:9], 4
	v_mad_u64_u32 v[3:4], s[2:3], s27, v0, v[3:4]
	s_lshl_b64 s[2:3], s[24:25], 4
	s_add_u32 s2, s22, s2
	s_addc_u32 s3, s23, s3
	v_lshlrev_b64 v[2:3], 4, v[2:3]
	s_add_u32 s2, s2, s20
	s_addc_u32 s3, s3, s21
	v_mov_b32_e32 v4, s3
	v_add_co_u32_e32 v6, vcc, s2, v2
	v_addc_co_u32_e32 v7, vcc, v4, v3, vcc
	s_lshl_b64 s[20:21], s[26:27], 12
	v_mov_b32_e32 v2, 0
	v_mov_b32_e32 v4, 0
	;; [unrolled: 1-line block ×4, first 2 shown]
	s_mov_b64 s[28:29], 0
	v_mov_b32_e32 v10, s21
	v_mov_b32_e32 v5, 0
	;; [unrolled: 1-line block ×3, first 2 shown]
.LBB12_4:                               ; =>This Inner Loop Header: Depth=1
	global_load_dwordx4 v[11:14], v[6:7], off
	v_add_co_u32_e32 v8, vcc, 0x100, v8
	v_addc_co_u32_e32 v9, vcc, 0, v9, vcc
	v_cmp_le_i64_e32 vcc, s[4:5], v[8:9]
	v_add_co_u32_e64 v6, s[2:3], s20, v6
	s_or_b64 s[28:29], vcc, s[28:29]
	v_addc_co_u32_e64 v7, vcc, v7, v10, s[2:3]
	s_waitcnt vmcnt(0)
	v_mul_f64 v[15:16], v[13:14], v[13:14]
	v_mul_f64 v[17:18], v[11:12], v[13:14]
	v_fma_f64 v[15:16], v[11:12], v[11:12], v[15:16]
	v_fma_f64 v[11:12], v[11:12], v[13:14], -v[17:18]
	v_add_f64 v[4:5], v[4:5], v[15:16]
	v_add_f64 v[2:3], v[2:3], v[11:12]
	s_andn2_b64 exec, exec, s[28:29]
	s_cbranch_execnz .LBB12_4
; %bb.5:
	s_or_b64 exec, exec, s[28:29]
.LBB12_6:
	s_or_b64 exec, exec, s[18:19]
	v_mbcnt_lo_u32_b32 v6, -1, 0
	v_mbcnt_hi_u32_b32 v10, -1, v6
	v_and_b32_e32 v11, 63, v10
	v_cmp_ne_u32_e32 vcc, 63, v11
	v_addc_co_u32_e32 v6, vcc, 0, v10, vcc
	v_lshlrev_b32_e32 v9, 2, v6
	ds_bpermute_b32 v6, v9, v4
	ds_bpermute_b32 v7, v9, v5
	;; [unrolled: 1-line block ×4, first 2 shown]
	v_cmp_gt_u32_e32 vcc, 62, v11
	s_waitcnt lgkmcnt(2)
	v_add_f64 v[4:5], v[4:5], v[6:7]
	v_cndmask_b32_e64 v6, 0, 2, vcc
	s_waitcnt lgkmcnt(0)
	v_add_f64 v[2:3], v[2:3], v[8:9]
	v_add_lshl_u32 v9, v6, v10, 2
	v_cmp_gt_u32_e32 vcc, 60, v11
	ds_bpermute_b32 v6, v9, v4
	ds_bpermute_b32 v7, v9, v5
	ds_bpermute_b32 v8, v9, v2
	ds_bpermute_b32 v9, v9, v3
	s_waitcnt lgkmcnt(2)
	v_add_f64 v[4:5], v[4:5], v[6:7]
	v_cndmask_b32_e64 v6, 0, 4, vcc
	s_waitcnt lgkmcnt(0)
	v_add_f64 v[2:3], v[2:3], v[8:9]
	v_add_lshl_u32 v9, v6, v10, 2
	v_cmp_gt_u32_e32 vcc, 56, v11
	ds_bpermute_b32 v6, v9, v4
	ds_bpermute_b32 v7, v9, v5
	ds_bpermute_b32 v8, v9, v2
	ds_bpermute_b32 v9, v9, v3
	;; [unrolled: 11-line block ×3, first 2 shown]
	s_waitcnt lgkmcnt(2)
	v_add_f64 v[4:5], v[4:5], v[6:7]
	v_cndmask_b32_e64 v6, 0, 16, vcc
	s_waitcnt lgkmcnt(0)
	v_add_f64 v[2:3], v[2:3], v[8:9]
	v_add_lshl_u32 v9, v6, v10, 2
	ds_bpermute_b32 v6, v9, v4
	ds_bpermute_b32 v7, v9, v5
	;; [unrolled: 1-line block ×4, first 2 shown]
	s_waitcnt lgkmcnt(2)
	v_add_f64 v[4:5], v[4:5], v[6:7]
	s_waitcnt lgkmcnt(0)
	v_add_f64 v[6:7], v[2:3], v[8:9]
	v_mov_b32_e32 v2, 0x80
	v_lshl_or_b32 v9, v10, 2, v2
	ds_bpermute_b32 v2, v9, v4
	ds_bpermute_b32 v3, v9, v5
	;; [unrolled: 1-line block ×4, first 2 shown]
	s_waitcnt lgkmcnt(2)
	v_add_f64 v[2:3], v[4:5], v[2:3]
	s_waitcnt lgkmcnt(0)
	v_add_f64 v[4:5], v[6:7], v[8:9]
	v_and_b32_e32 v6, 63, v0
	v_cmp_eq_u32_e32 vcc, 0, v6
	s_and_saveexec_b64 s[2:3], vcc
; %bb.7:
	v_lshrrev_b32_e32 v6, 2, v0
	ds_write_b128 v6, v[2:5]
; %bb.8:
	s_or_b64 exec, exec, s[2:3]
	v_cmp_eq_u32_e32 vcc, 0, v0
	s_waitcnt lgkmcnt(0)
	s_barrier
	s_and_saveexec_b64 s[2:3], vcc
	s_cbranch_execz .LBB12_10
; %bb.9:
	v_mov_b32_e32 v14, 0
	ds_read_b128 v[6:9], v14 offset:16
	ds_read_b128 v[10:13], v14 offset:32
	s_waitcnt lgkmcnt(1)
	v_add_f64 v[2:3], v[2:3], v[6:7]
	v_add_f64 v[4:5], v[4:5], v[8:9]
	s_waitcnt lgkmcnt(0)
	v_add_f64 v[6:7], v[2:3], v[10:11]
	v_add_f64 v[8:9], v[4:5], v[12:13]
	ds_read_b128 v[2:5], v14 offset:48
	s_waitcnt lgkmcnt(0)
	v_add_f64 v[2:3], v[6:7], v[2:3]
	v_add_f64 v[4:5], v[8:9], v[4:5]
	ds_write_b128 v14, v[2:5]
.LBB12_10:
	s_or_b64 exec, exec, s[2:3]
	s_waitcnt lgkmcnt(0)
	s_barrier
	s_and_saveexec_b64 s[2:3], vcc
	s_cbranch_execz .LBB12_20
; %bb.11:
	s_mul_i32 s6, s15, s7
	s_mul_hi_u32 s9, s14, s7
	s_add_i32 s15, s9, s6
	s_mul_i32 s14, s14, s7
	s_lshl_b64 s[14:15], s[14:15], 4
	s_add_u32 s6, s10, s14
	s_addc_u32 s9, s11, s15
	s_lshl_b64 s[10:11], s[12:13], 4
	s_add_u32 s10, s6, s10
	s_addc_u32 s11, s9, s11
	v_mov_b32_e32 v2, 0
	s_load_dwordx2 s[12:13], s[10:11], 0x8
	ds_read_b64 v[8:9], v2
	s_mul_i32 s6, s17, s7
	s_mul_hi_u32 s9, s16, s7
	s_add_i32 s15, s9, s6
	s_waitcnt lgkmcnt(0)
	v_mul_f64 v[6:7], s[12:13], s[12:13]
	v_max_f64 v[3:4], v[8:9], v[8:9]
	s_mul_i32 s14, s16, s7
	s_lshl_b64 s[6:7], s[14:15], 4
	s_add_u32 s16, s30, s6
	s_addc_u32 s17, s31, s7
	s_cmp_eq_u64 s[34:35], 0
	s_cselect_b64 s[14:15], -1, 0
	s_cmp_lg_u64 s[34:35], 0
	v_max_f64 v[3:4], v[3:4], v[6:7]
	s_mov_b64 s[18:19], 0
	s_cselect_b64 s[6:7], -1, 0
	v_cmp_nlt_f64_e32 vcc, 0, v[3:4]
	s_cbranch_vccz .LBB12_14
; %bb.12:
	v_mov_b32_e32 v3, 0x3ff00000
	v_mov_b32_e32 v4, v2
	;; [unrolled: 1-line block ×3, first 2 shown]
	ds_write_b128 v2, v[2:5]
	v_mov_b32_e32 v3, v2
	s_mov_b64 s[28:29], 0
	s_and_b64 vcc, exec, s[6:7]
	global_store_dwordx4 v2, v[2:5], s[16:17]
                                        ; implicit-def: $vgpr4_vgpr5
	s_cbranch_vccz .LBB12_15
; %bb.13:
	v_mov_b32_e32 v2, 0
	global_load_dwordx2 v[2:3], v2, s[10:11]
	s_mov_b64 s[20:21], -1
	s_and_b64 vcc, exec, s[28:29]
	s_cbranch_vccnz .LBB12_16
	s_branch .LBB12_17
.LBB12_14:
	s_mov_b64 s[28:29], -1
.LBB12_15:
	s_mov_b64 s[20:21], 0
                                        ; implicit-def: $vgpr2_vgpr3
	s_and_b64 vcc, exec, s[28:29]
	s_cbranch_vccz .LBB12_17
.LBB12_16:
	v_mov_b32_e32 v18, 0
	global_load_dwordx2 v[10:11], v18, s[10:11]
	s_mov_b32 s18, 0
	s_brev_b32 s19, 8
	s_mov_b64 s[20:21], s[6:7]
	s_waitcnt vmcnt(0)
	v_fma_f64 v[2:3], v[10:11], v[10:11], v[6:7]
	v_add_f64 v[2:3], v[8:9], v[2:3]
	v_cmp_gt_f64_e32 vcc, s[18:19], v[2:3]
	s_and_b64 s[18:19], vcc, exec
	s_cselect_b32 s9, 0x100, 0
	v_ldexp_f64 v[2:3], v[2:3], s9
	s_cselect_b32 s9, 0xffffff80, 0
	v_rsq_f64_e32 v[4:5], v[2:3]
	v_mul_f64 v[8:9], v[2:3], v[4:5]
	v_mul_f64 v[4:5], v[4:5], 0.5
	v_fma_f64 v[12:13], -v[4:5], v[8:9], 0.5
	v_fma_f64 v[8:9], v[8:9], v[12:13], v[8:9]
	v_fma_f64 v[4:5], v[4:5], v[12:13], v[4:5]
	v_fma_f64 v[14:15], -v[8:9], v[8:9], v[2:3]
	v_fma_f64 v[8:9], v[14:15], v[4:5], v[8:9]
	v_fma_f64 v[12:13], -v[8:9], v[8:9], v[2:3]
	v_fma_f64 v[4:5], v[12:13], v[4:5], v[8:9]
	v_mov_b32_e32 v8, 0x260
	v_cmp_class_f64_e32 vcc, v[2:3], v8
	v_ldexp_f64 v[4:5], v[4:5], s9
	v_cndmask_b32_e32 v2, v4, v2, vcc
	v_cndmask_b32_e32 v3, v5, v3, vcc
	v_cmp_le_f64_e32 vcc, 0, v[10:11]
	v_xor_b32_e32 v4, 0x80000000, v3
	v_cndmask_b32_e32 v3, v3, v4, vcc
	v_add_f64 v[4:5], v[10:11], -v[2:3]
	v_fma_f64 v[6:7], v[4:5], v[4:5], v[6:7]
	v_div_scale_f64 v[8:9], s[18:19], v[6:7], v[6:7], v[4:5]
	v_rcp_f64_e32 v[12:13], v[8:9]
	v_fma_f64 v[14:15], -v[8:9], v[12:13], 1.0
	v_fma_f64 v[12:13], v[12:13], v[14:15], v[12:13]
	v_fma_f64 v[14:15], -v[8:9], v[12:13], 1.0
	v_fma_f64 v[12:13], v[12:13], v[14:15], v[12:13]
	v_div_scale_f64 v[14:15], vcc, v[4:5], v[6:7], v[4:5]
	v_mul_f64 v[16:17], v[14:15], v[12:13]
	v_fma_f64 v[8:9], -v[8:9], v[16:17], v[14:15]
	s_nop 1
	v_div_fmas_f64 v[8:9], v[8:9], v[12:13], v[16:17]
	v_div_fixup_f64 v[4:5], v[8:9], v[6:7], v[4:5]
	v_div_scale_f64 v[8:9], s[18:19], v[6:7], v[6:7], -s[12:13]
	v_rcp_f64_e32 v[12:13], v[8:9]
	v_fma_f64 v[14:15], -v[8:9], v[12:13], 1.0
	v_fma_f64 v[12:13], v[12:13], v[14:15], v[12:13]
	v_fma_f64 v[14:15], -v[8:9], v[12:13], 1.0
	v_fma_f64 v[12:13], v[12:13], v[14:15], v[12:13]
	v_div_scale_f64 v[14:15], vcc, -s[12:13], v[6:7], -s[12:13]
	v_mul_f64 v[16:17], v[14:15], v[12:13]
	v_fma_f64 v[8:9], -v[8:9], v[16:17], v[14:15]
	s_nop 1
	v_div_fmas_f64 v[8:9], v[8:9], v[12:13], v[16:17]
	v_div_fixup_f64 v[6:7], v[8:9], v[6:7], -s[12:13]
	ds_write_b128 v18, v[4:7]
	v_add_f64 v[4:5], v[2:3], -v[10:11]
	v_div_scale_f64 v[6:7], s[18:19], v[2:3], v[2:3], v[4:5]
	v_rcp_f64_e32 v[8:9], v[6:7]
	v_fma_f64 v[10:11], -v[6:7], v[8:9], 1.0
	v_fma_f64 v[8:9], v[8:9], v[10:11], v[8:9]
	v_fma_f64 v[10:11], -v[6:7], v[8:9], 1.0
	v_fma_f64 v[8:9], v[8:9], v[10:11], v[8:9]
	v_div_scale_f64 v[10:11], vcc, v[4:5], v[2:3], v[4:5]
	v_mul_f64 v[12:13], v[10:11], v[8:9]
	v_fma_f64 v[6:7], -v[6:7], v[12:13], v[10:11]
	s_nop 1
	v_div_fmas_f64 v[6:7], v[6:7], v[8:9], v[12:13]
	v_div_fixup_f64 v[4:5], v[6:7], v[2:3], v[4:5]
	v_div_scale_f64 v[6:7], s[18:19], v[2:3], v[2:3], -s[12:13]
	s_mov_b64 s[18:19], s[14:15]
	v_rcp_f64_e32 v[8:9], v[6:7]
	v_fma_f64 v[10:11], -v[6:7], v[8:9], 1.0
	v_fma_f64 v[8:9], v[8:9], v[10:11], v[8:9]
	v_fma_f64 v[10:11], -v[6:7], v[8:9], 1.0
	v_fma_f64 v[8:9], v[8:9], v[10:11], v[8:9]
	v_div_scale_f64 v[10:11], vcc, -s[12:13], v[2:3], -s[12:13]
	v_mul_f64 v[12:13], v[10:11], v[8:9]
	v_fma_f64 v[6:7], -v[6:7], v[12:13], v[10:11]
	s_nop 1
	v_div_fmas_f64 v[6:7], v[6:7], v[8:9], v[12:13]
	v_div_fixup_f64 v[6:7], v[6:7], v[2:3], -s[12:13]
	global_store_dwordx4 v18, v[4:7], s[16:17]
.LBB12_17:
	s_andn2_b64 vcc, exec, s[20:21]
	s_cbranch_vccz .LBB12_24
; %bb.18:
	s_andn2_b64 vcc, exec, s[18:19]
	s_cbranch_vccnz .LBB12_20
.LBB12_19:
	v_mov_b32_e32 v4, 0
	v_mov_b32_e32 v5, v4
	s_waitcnt vmcnt(0)
	global_store_dwordx4 v4, v[2:5], s[10:11]
.LBB12_20:
	s_or_b64 exec, exec, s[2:3]
	s_waitcnt vmcnt(0) lgkmcnt(0)
	s_barrier
	s_and_saveexec_b64 s[2:3], s[0:1]
	s_cbranch_execz .LBB12_23
; %bb.21:
	v_mad_u64_u32 v[6:7], s[0:1], s26, v0, 0
	v_mov_b32_e32 v3, 0
	s_add_i32 s9, s36, s33
	v_mov_b32_e32 v2, v7
	v_mad_u64_u32 v[7:8], s[0:1], s27, v0, v[2:3]
	s_lshl_b64 s[0:1], s[8:9], 4
	s_lshl_b64 s[2:3], s[24:25], 4
	s_add_u32 s2, s22, s2
	s_addc_u32 s3, s23, s3
	v_lshlrev_b64 v[6:7], 4, v[6:7]
	s_add_u32 s0, s2, s0
	ds_read_b128 v[2:5], v3
	s_addc_u32 s1, s3, s1
	v_mov_b32_e32 v8, s1
	v_add_co_u32_e32 v6, vcc, s0, v6
	v_addc_co_u32_e32 v7, vcc, v8, v7, vcc
	v_add_co_u32_e32 v6, vcc, 8, v6
	s_lshl_b64 s[0:1], s[26:27], 12
	v_addc_co_u32_e32 v7, vcc, 0, v7, vcc
	s_mov_b64 s[2:3], 0
	v_mov_b32_e32 v8, s1
.LBB12_22:                              ; =>This Inner Loop Header: Depth=1
	global_load_dwordx4 v[9:12], v[6:7], off offset:-8
	v_add_co_u32_e32 v0, vcc, 0x100, v0
	v_addc_co_u32_e32 v1, vcc, 0, v1, vcc
	v_cmp_le_i64_e32 vcc, s[4:5], v[0:1]
	s_or_b64 s[2:3], vcc, s[2:3]
	s_waitcnt vmcnt(0) lgkmcnt(0)
	v_mul_f64 v[13:14], v[4:5], v[11:12]
	v_mul_f64 v[15:16], v[2:3], v[11:12]
	v_fma_f64 v[11:12], v[2:3], v[9:10], -v[13:14]
	v_fma_f64 v[13:14], v[4:5], v[9:10], v[15:16]
	global_store_dwordx4 v[6:7], v[11:14], off offset:-8
	v_add_co_u32_e32 v6, vcc, s0, v6
	v_addc_co_u32_e32 v7, vcc, v7, v8, vcc
	s_andn2_b64 exec, exec, s[2:3]
	s_cbranch_execnz .LBB12_22
.LBB12_23:
	s_endpgm
.LBB12_24:
	v_mov_b32_e32 v4, 0
	s_waitcnt vmcnt(0)
	global_store_dwordx2 v4, v[2:3], s[34:35]
	v_mov_b32_e32 v2, 0
	v_mov_b32_e32 v3, 0x3ff00000
	s_branch .LBB12_19
	.section	.rodata,"a",@progbits
	.p2align	6, 0x0
	.amdhsa_kernel _ZN9rocsolver6v33100L18larfg_kernel_smallILi256E19rocblas_complex_numIdEldPS3_EEvT1_T3_llPT2_llS6_lS5_lPT0_l
		.amdhsa_group_segment_fixed_size 64
		.amdhsa_private_segment_fixed_size 0
		.amdhsa_kernarg_size 104
		.amdhsa_user_sgpr_count 6
		.amdhsa_user_sgpr_private_segment_buffer 1
		.amdhsa_user_sgpr_dispatch_ptr 0
		.amdhsa_user_sgpr_queue_ptr 0
		.amdhsa_user_sgpr_kernarg_segment_ptr 1
		.amdhsa_user_sgpr_dispatch_id 0
		.amdhsa_user_sgpr_flat_scratch_init 0
		.amdhsa_user_sgpr_private_segment_size 0
		.amdhsa_uses_dynamic_stack 0
		.amdhsa_system_sgpr_private_segment_wavefront_offset 0
		.amdhsa_system_sgpr_workgroup_id_x 1
		.amdhsa_system_sgpr_workgroup_id_y 0
		.amdhsa_system_sgpr_workgroup_id_z 1
		.amdhsa_system_sgpr_workgroup_info 0
		.amdhsa_system_vgpr_workitem_id 0
		.amdhsa_next_free_vgpr 19
		.amdhsa_next_free_sgpr 37
		.amdhsa_reserve_vcc 1
		.amdhsa_reserve_flat_scratch 0
		.amdhsa_float_round_mode_32 0
		.amdhsa_float_round_mode_16_64 0
		.amdhsa_float_denorm_mode_32 3
		.amdhsa_float_denorm_mode_16_64 3
		.amdhsa_dx10_clamp 1
		.amdhsa_ieee_mode 1
		.amdhsa_fp16_overflow 0
		.amdhsa_exception_fp_ieee_invalid_op 0
		.amdhsa_exception_fp_denorm_src 0
		.amdhsa_exception_fp_ieee_div_zero 0
		.amdhsa_exception_fp_ieee_overflow 0
		.amdhsa_exception_fp_ieee_underflow 0
		.amdhsa_exception_fp_ieee_inexact 0
		.amdhsa_exception_int_div_zero 0
	.end_amdhsa_kernel
	.section	.text._ZN9rocsolver6v33100L18larfg_kernel_smallILi256E19rocblas_complex_numIdEldPS3_EEvT1_T3_llPT2_llS6_lS5_lPT0_l,"axG",@progbits,_ZN9rocsolver6v33100L18larfg_kernel_smallILi256E19rocblas_complex_numIdEldPS3_EEvT1_T3_llPT2_llS6_lS5_lPT0_l,comdat
.Lfunc_end12:
	.size	_ZN9rocsolver6v33100L18larfg_kernel_smallILi256E19rocblas_complex_numIdEldPS3_EEvT1_T3_llPT2_llS6_lS5_lPT0_l, .Lfunc_end12-_ZN9rocsolver6v33100L18larfg_kernel_smallILi256E19rocblas_complex_numIdEldPS3_EEvT1_T3_llPT2_llS6_lS5_lPT0_l
                                        ; -- End function
	.set _ZN9rocsolver6v33100L18larfg_kernel_smallILi256E19rocblas_complex_numIdEldPS3_EEvT1_T3_llPT2_llS6_lS5_lPT0_l.num_vgpr, 19
	.set _ZN9rocsolver6v33100L18larfg_kernel_smallILi256E19rocblas_complex_numIdEldPS3_EEvT1_T3_llPT2_llS6_lS5_lPT0_l.num_agpr, 0
	.set _ZN9rocsolver6v33100L18larfg_kernel_smallILi256E19rocblas_complex_numIdEldPS3_EEvT1_T3_llPT2_llS6_lS5_lPT0_l.numbered_sgpr, 37
	.set _ZN9rocsolver6v33100L18larfg_kernel_smallILi256E19rocblas_complex_numIdEldPS3_EEvT1_T3_llPT2_llS6_lS5_lPT0_l.num_named_barrier, 0
	.set _ZN9rocsolver6v33100L18larfg_kernel_smallILi256E19rocblas_complex_numIdEldPS3_EEvT1_T3_llPT2_llS6_lS5_lPT0_l.private_seg_size, 0
	.set _ZN9rocsolver6v33100L18larfg_kernel_smallILi256E19rocblas_complex_numIdEldPS3_EEvT1_T3_llPT2_llS6_lS5_lPT0_l.uses_vcc, 1
	.set _ZN9rocsolver6v33100L18larfg_kernel_smallILi256E19rocblas_complex_numIdEldPS3_EEvT1_T3_llPT2_llS6_lS5_lPT0_l.uses_flat_scratch, 0
	.set _ZN9rocsolver6v33100L18larfg_kernel_smallILi256E19rocblas_complex_numIdEldPS3_EEvT1_T3_llPT2_llS6_lS5_lPT0_l.has_dyn_sized_stack, 0
	.set _ZN9rocsolver6v33100L18larfg_kernel_smallILi256E19rocblas_complex_numIdEldPS3_EEvT1_T3_llPT2_llS6_lS5_lPT0_l.has_recursion, 0
	.set _ZN9rocsolver6v33100L18larfg_kernel_smallILi256E19rocblas_complex_numIdEldPS3_EEvT1_T3_llPT2_llS6_lS5_lPT0_l.has_indirect_call, 0
	.section	.AMDGPU.csdata,"",@progbits
; Kernel info:
; codeLenInByte = 2088
; TotalNumSgprs: 41
; NumVgprs: 19
; ScratchSize: 0
; MemoryBound: 0
; FloatMode: 240
; IeeeMode: 1
; LDSByteSize: 64 bytes/workgroup (compile time only)
; SGPRBlocks: 5
; VGPRBlocks: 4
; NumSGPRsForWavesPerEU: 41
; NumVGPRsForWavesPerEU: 19
; Occupancy: 10
; WaveLimiterHint : 0
; COMPUTE_PGM_RSRC2:SCRATCH_EN: 0
; COMPUTE_PGM_RSRC2:USER_SGPR: 6
; COMPUTE_PGM_RSRC2:TRAP_HANDLER: 0
; COMPUTE_PGM_RSRC2:TGID_X_EN: 1
; COMPUTE_PGM_RSRC2:TGID_Y_EN: 0
; COMPUTE_PGM_RSRC2:TGID_Z_EN: 1
; COMPUTE_PGM_RSRC2:TIDIG_COMP_CNT: 0
	.section	.text._ZN9rocsolver6v33100L18larfg_kernel_smallILi512E19rocblas_complex_numIdEldPS3_EEvT1_T3_llPT2_llS6_lS5_lPT0_l,"axG",@progbits,_ZN9rocsolver6v33100L18larfg_kernel_smallILi512E19rocblas_complex_numIdEldPS3_EEvT1_T3_llPT2_llS6_lS5_lPT0_l,comdat
	.globl	_ZN9rocsolver6v33100L18larfg_kernel_smallILi512E19rocblas_complex_numIdEldPS3_EEvT1_T3_llPT2_llS6_lS5_lPT0_l ; -- Begin function _ZN9rocsolver6v33100L18larfg_kernel_smallILi512E19rocblas_complex_numIdEldPS3_EEvT1_T3_llPT2_llS6_lS5_lPT0_l
	.p2align	8
	.type	_ZN9rocsolver6v33100L18larfg_kernel_smallILi512E19rocblas_complex_numIdEldPS3_EEvT1_T3_llPT2_llS6_lS5_lPT0_l,@function
_ZN9rocsolver6v33100L18larfg_kernel_smallILi512E19rocblas_complex_numIdEldPS3_EEvT1_T3_llPT2_llS6_lS5_lPT0_l: ; @_ZN9rocsolver6v33100L18larfg_kernel_smallILi512E19rocblas_complex_numIdEldPS3_EEvT1_T3_llPT2_llS6_lS5_lPT0_l
; %bb.0:
	s_load_dwordx16 s[8:23], s[4:5], 0x0
	s_mov_b64 s[34:35], 0
	s_waitcnt lgkmcnt(0)
	s_cmp_eq_u64 s[16:17], 0
	s_cbranch_scc1 .LBB13_2
; %bb.1:
	s_mul_i32 s0, s21, s7
	s_mul_hi_u32 s1, s20, s7
	s_add_i32 s1, s1, s0
	s_mul_i32 s0, s20, s7
	s_lshl_b64 s[0:1], s[0:1], 3
	s_add_u32 s2, s16, s0
	s_addc_u32 s3, s17, s1
	s_lshl_b64 s[0:1], s[18:19], 3
	s_add_u32 s34, s2, s0
	s_addc_u32 s35, s3, s1
.LBB13_2:
	s_load_dwordx8 s[24:31], s[4:5], 0x40
	s_load_dwordx2 s[16:17], s[4:5], 0x60
	s_add_u32 s4, s8, -1
	v_mov_b32_e32 v1, 0
	s_addc_u32 s5, s9, -1
	v_cmp_gt_i64_e64 s[0:1], s[4:5], v[0:1]
	v_mov_b32_e32 v2, 0
	v_mov_b32_e32 v4, 0
	;; [unrolled: 1-line block ×3, first 2 shown]
	s_waitcnt lgkmcnt(0)
	s_mul_i32 s33, s29, s7
	s_mul_hi_u32 s36, s28, s7
	v_mov_b32_e32 v5, 0
	s_mul_i32 s8, s28, s7
	s_and_saveexec_b64 s[18:19], s[0:1]
	s_cbranch_execz .LBB13_6
; %bb.3:
	v_mad_u64_u32 v[2:3], s[2:3], s26, v0, 0
	s_add_i32 s9, s36, s33
	s_lshl_b64 s[20:21], s[8:9], 4
	v_mad_u64_u32 v[3:4], s[2:3], s27, v0, v[3:4]
	s_lshl_b64 s[2:3], s[24:25], 4
	s_add_u32 s2, s22, s2
	s_addc_u32 s3, s23, s3
	v_lshlrev_b64 v[2:3], 4, v[2:3]
	s_add_u32 s2, s2, s20
	s_addc_u32 s3, s3, s21
	v_mov_b32_e32 v4, s3
	v_add_co_u32_e32 v6, vcc, s2, v2
	v_addc_co_u32_e32 v7, vcc, v4, v3, vcc
	s_lshl_b64 s[20:21], s[26:27], 13
	v_mov_b32_e32 v2, 0
	v_mov_b32_e32 v4, 0
	;; [unrolled: 1-line block ×4, first 2 shown]
	s_mov_b64 s[28:29], 0
	v_mov_b32_e32 v10, s21
	v_mov_b32_e32 v5, 0
	;; [unrolled: 1-line block ×3, first 2 shown]
.LBB13_4:                               ; =>This Inner Loop Header: Depth=1
	global_load_dwordx4 v[11:14], v[6:7], off
	v_add_co_u32_e32 v8, vcc, 0x200, v8
	v_addc_co_u32_e32 v9, vcc, 0, v9, vcc
	v_cmp_le_i64_e32 vcc, s[4:5], v[8:9]
	v_add_co_u32_e64 v6, s[2:3], s20, v6
	s_or_b64 s[28:29], vcc, s[28:29]
	v_addc_co_u32_e64 v7, vcc, v7, v10, s[2:3]
	s_waitcnt vmcnt(0)
	v_mul_f64 v[15:16], v[13:14], v[13:14]
	v_mul_f64 v[17:18], v[11:12], v[13:14]
	v_fma_f64 v[15:16], v[11:12], v[11:12], v[15:16]
	v_fma_f64 v[11:12], v[11:12], v[13:14], -v[17:18]
	v_add_f64 v[4:5], v[4:5], v[15:16]
	v_add_f64 v[2:3], v[2:3], v[11:12]
	s_andn2_b64 exec, exec, s[28:29]
	s_cbranch_execnz .LBB13_4
; %bb.5:
	s_or_b64 exec, exec, s[28:29]
.LBB13_6:
	s_or_b64 exec, exec, s[18:19]
	v_mbcnt_lo_u32_b32 v6, -1, 0
	v_mbcnt_hi_u32_b32 v10, -1, v6
	v_and_b32_e32 v11, 63, v10
	v_cmp_ne_u32_e32 vcc, 63, v11
	v_addc_co_u32_e32 v6, vcc, 0, v10, vcc
	v_lshlrev_b32_e32 v9, 2, v6
	ds_bpermute_b32 v6, v9, v4
	ds_bpermute_b32 v7, v9, v5
	;; [unrolled: 1-line block ×4, first 2 shown]
	v_cmp_gt_u32_e32 vcc, 62, v11
	s_waitcnt lgkmcnt(2)
	v_add_f64 v[4:5], v[4:5], v[6:7]
	v_cndmask_b32_e64 v6, 0, 2, vcc
	s_waitcnt lgkmcnt(0)
	v_add_f64 v[2:3], v[2:3], v[8:9]
	v_add_lshl_u32 v9, v6, v10, 2
	v_cmp_gt_u32_e32 vcc, 60, v11
	ds_bpermute_b32 v6, v9, v4
	ds_bpermute_b32 v7, v9, v5
	ds_bpermute_b32 v8, v9, v2
	ds_bpermute_b32 v9, v9, v3
	s_waitcnt lgkmcnt(2)
	v_add_f64 v[4:5], v[4:5], v[6:7]
	v_cndmask_b32_e64 v6, 0, 4, vcc
	s_waitcnt lgkmcnt(0)
	v_add_f64 v[2:3], v[2:3], v[8:9]
	v_add_lshl_u32 v9, v6, v10, 2
	v_cmp_gt_u32_e32 vcc, 56, v11
	ds_bpermute_b32 v6, v9, v4
	ds_bpermute_b32 v7, v9, v5
	ds_bpermute_b32 v8, v9, v2
	ds_bpermute_b32 v9, v9, v3
	;; [unrolled: 11-line block ×3, first 2 shown]
	s_waitcnt lgkmcnt(2)
	v_add_f64 v[4:5], v[4:5], v[6:7]
	v_cndmask_b32_e64 v6, 0, 16, vcc
	s_waitcnt lgkmcnt(0)
	v_add_f64 v[2:3], v[2:3], v[8:9]
	v_add_lshl_u32 v9, v6, v10, 2
	ds_bpermute_b32 v6, v9, v4
	ds_bpermute_b32 v7, v9, v5
	ds_bpermute_b32 v8, v9, v2
	ds_bpermute_b32 v9, v9, v3
	s_waitcnt lgkmcnt(2)
	v_add_f64 v[4:5], v[4:5], v[6:7]
	s_waitcnt lgkmcnt(0)
	v_add_f64 v[6:7], v[2:3], v[8:9]
	v_mov_b32_e32 v2, 0x80
	v_lshl_or_b32 v9, v10, 2, v2
	ds_bpermute_b32 v2, v9, v4
	ds_bpermute_b32 v3, v9, v5
	;; [unrolled: 1-line block ×4, first 2 shown]
	s_waitcnt lgkmcnt(2)
	v_add_f64 v[2:3], v[4:5], v[2:3]
	s_waitcnt lgkmcnt(0)
	v_add_f64 v[4:5], v[6:7], v[8:9]
	v_and_b32_e32 v6, 63, v0
	v_cmp_eq_u32_e32 vcc, 0, v6
	s_and_saveexec_b64 s[2:3], vcc
; %bb.7:
	v_lshrrev_b32_e32 v6, 2, v0
	ds_write_b128 v6, v[2:5]
; %bb.8:
	s_or_b64 exec, exec, s[2:3]
	v_cmp_eq_u32_e32 vcc, 0, v0
	s_waitcnt lgkmcnt(0)
	s_barrier
	s_and_saveexec_b64 s[2:3], vcc
	s_cbranch_execz .LBB13_10
; %bb.9:
	v_mov_b32_e32 v14, 0
	ds_read_b128 v[6:9], v14 offset:16
	ds_read_b128 v[10:13], v14 offset:32
	s_waitcnt lgkmcnt(1)
	v_add_f64 v[2:3], v[2:3], v[6:7]
	v_add_f64 v[4:5], v[4:5], v[8:9]
	s_waitcnt lgkmcnt(0)
	v_add_f64 v[10:11], v[2:3], v[10:11]
	v_add_f64 v[12:13], v[4:5], v[12:13]
	ds_read_b128 v[2:5], v14 offset:48
	ds_read_b128 v[6:9], v14 offset:64
	s_waitcnt lgkmcnt(1)
	v_add_f64 v[2:3], v[10:11], v[2:3]
	v_add_f64 v[4:5], v[12:13], v[4:5]
	s_waitcnt lgkmcnt(0)
	v_add_f64 v[10:11], v[2:3], v[6:7]
	v_add_f64 v[12:13], v[4:5], v[8:9]
	;; [unrolled: 8-line block ×3, first 2 shown]
	ds_read_b128 v[2:5], v14 offset:112
	s_waitcnt lgkmcnt(0)
	v_add_f64 v[2:3], v[6:7], v[2:3]
	v_add_f64 v[4:5], v[8:9], v[4:5]
	ds_write_b128 v14, v[2:5]
.LBB13_10:
	s_or_b64 exec, exec, s[2:3]
	s_waitcnt lgkmcnt(0)
	s_barrier
	s_and_saveexec_b64 s[2:3], vcc
	s_cbranch_execz .LBB13_20
; %bb.11:
	s_mul_i32 s6, s15, s7
	s_mul_hi_u32 s9, s14, s7
	s_add_i32 s15, s9, s6
	s_mul_i32 s14, s14, s7
	s_lshl_b64 s[14:15], s[14:15], 4
	s_add_u32 s6, s10, s14
	s_addc_u32 s9, s11, s15
	s_lshl_b64 s[10:11], s[12:13], 4
	s_add_u32 s10, s6, s10
	s_addc_u32 s11, s9, s11
	v_mov_b32_e32 v2, 0
	s_load_dwordx2 s[12:13], s[10:11], 0x8
	ds_read_b64 v[8:9], v2
	s_mul_i32 s6, s17, s7
	s_mul_hi_u32 s9, s16, s7
	s_add_i32 s15, s9, s6
	s_waitcnt lgkmcnt(0)
	v_mul_f64 v[6:7], s[12:13], s[12:13]
	v_max_f64 v[3:4], v[8:9], v[8:9]
	s_mul_i32 s14, s16, s7
	s_lshl_b64 s[6:7], s[14:15], 4
	s_add_u32 s16, s30, s6
	s_addc_u32 s17, s31, s7
	s_cmp_eq_u64 s[34:35], 0
	s_cselect_b64 s[14:15], -1, 0
	s_cmp_lg_u64 s[34:35], 0
	v_max_f64 v[3:4], v[3:4], v[6:7]
	s_mov_b64 s[18:19], 0
	s_cselect_b64 s[6:7], -1, 0
	v_cmp_nlt_f64_e32 vcc, 0, v[3:4]
	s_cbranch_vccz .LBB13_14
; %bb.12:
	v_mov_b32_e32 v3, 0x3ff00000
	v_mov_b32_e32 v4, v2
	;; [unrolled: 1-line block ×3, first 2 shown]
	ds_write_b128 v2, v[2:5]
	v_mov_b32_e32 v3, v2
	s_mov_b64 s[28:29], 0
	s_and_b64 vcc, exec, s[6:7]
	global_store_dwordx4 v2, v[2:5], s[16:17]
                                        ; implicit-def: $vgpr4_vgpr5
	s_cbranch_vccz .LBB13_15
; %bb.13:
	v_mov_b32_e32 v2, 0
	global_load_dwordx2 v[2:3], v2, s[10:11]
	s_mov_b64 s[20:21], -1
	s_and_b64 vcc, exec, s[28:29]
	s_cbranch_vccnz .LBB13_16
	s_branch .LBB13_17
.LBB13_14:
	s_mov_b64 s[28:29], -1
.LBB13_15:
	s_mov_b64 s[20:21], 0
                                        ; implicit-def: $vgpr2_vgpr3
	s_and_b64 vcc, exec, s[28:29]
	s_cbranch_vccz .LBB13_17
.LBB13_16:
	v_mov_b32_e32 v18, 0
	global_load_dwordx2 v[10:11], v18, s[10:11]
	s_mov_b32 s18, 0
	s_brev_b32 s19, 8
	s_mov_b64 s[20:21], s[6:7]
	s_waitcnt vmcnt(0)
	v_fma_f64 v[2:3], v[10:11], v[10:11], v[6:7]
	v_add_f64 v[2:3], v[8:9], v[2:3]
	v_cmp_gt_f64_e32 vcc, s[18:19], v[2:3]
	s_and_b64 s[18:19], vcc, exec
	s_cselect_b32 s9, 0x100, 0
	v_ldexp_f64 v[2:3], v[2:3], s9
	s_cselect_b32 s9, 0xffffff80, 0
	v_rsq_f64_e32 v[4:5], v[2:3]
	v_mul_f64 v[8:9], v[2:3], v[4:5]
	v_mul_f64 v[4:5], v[4:5], 0.5
	v_fma_f64 v[12:13], -v[4:5], v[8:9], 0.5
	v_fma_f64 v[8:9], v[8:9], v[12:13], v[8:9]
	v_fma_f64 v[4:5], v[4:5], v[12:13], v[4:5]
	v_fma_f64 v[14:15], -v[8:9], v[8:9], v[2:3]
	v_fma_f64 v[8:9], v[14:15], v[4:5], v[8:9]
	v_fma_f64 v[12:13], -v[8:9], v[8:9], v[2:3]
	v_fma_f64 v[4:5], v[12:13], v[4:5], v[8:9]
	v_mov_b32_e32 v8, 0x260
	v_cmp_class_f64_e32 vcc, v[2:3], v8
	v_ldexp_f64 v[4:5], v[4:5], s9
	v_cndmask_b32_e32 v2, v4, v2, vcc
	v_cndmask_b32_e32 v3, v5, v3, vcc
	v_cmp_le_f64_e32 vcc, 0, v[10:11]
	v_xor_b32_e32 v4, 0x80000000, v3
	v_cndmask_b32_e32 v3, v3, v4, vcc
	v_add_f64 v[4:5], v[10:11], -v[2:3]
	v_fma_f64 v[6:7], v[4:5], v[4:5], v[6:7]
	v_div_scale_f64 v[8:9], s[18:19], v[6:7], v[6:7], v[4:5]
	v_rcp_f64_e32 v[12:13], v[8:9]
	v_fma_f64 v[14:15], -v[8:9], v[12:13], 1.0
	v_fma_f64 v[12:13], v[12:13], v[14:15], v[12:13]
	v_fma_f64 v[14:15], -v[8:9], v[12:13], 1.0
	v_fma_f64 v[12:13], v[12:13], v[14:15], v[12:13]
	v_div_scale_f64 v[14:15], vcc, v[4:5], v[6:7], v[4:5]
	v_mul_f64 v[16:17], v[14:15], v[12:13]
	v_fma_f64 v[8:9], -v[8:9], v[16:17], v[14:15]
	s_nop 1
	v_div_fmas_f64 v[8:9], v[8:9], v[12:13], v[16:17]
	v_div_fixup_f64 v[4:5], v[8:9], v[6:7], v[4:5]
	v_div_scale_f64 v[8:9], s[18:19], v[6:7], v[6:7], -s[12:13]
	v_rcp_f64_e32 v[12:13], v[8:9]
	v_fma_f64 v[14:15], -v[8:9], v[12:13], 1.0
	v_fma_f64 v[12:13], v[12:13], v[14:15], v[12:13]
	v_fma_f64 v[14:15], -v[8:9], v[12:13], 1.0
	v_fma_f64 v[12:13], v[12:13], v[14:15], v[12:13]
	v_div_scale_f64 v[14:15], vcc, -s[12:13], v[6:7], -s[12:13]
	v_mul_f64 v[16:17], v[14:15], v[12:13]
	v_fma_f64 v[8:9], -v[8:9], v[16:17], v[14:15]
	s_nop 1
	v_div_fmas_f64 v[8:9], v[8:9], v[12:13], v[16:17]
	v_div_fixup_f64 v[6:7], v[8:9], v[6:7], -s[12:13]
	ds_write_b128 v18, v[4:7]
	v_add_f64 v[4:5], v[2:3], -v[10:11]
	v_div_scale_f64 v[6:7], s[18:19], v[2:3], v[2:3], v[4:5]
	v_rcp_f64_e32 v[8:9], v[6:7]
	v_fma_f64 v[10:11], -v[6:7], v[8:9], 1.0
	v_fma_f64 v[8:9], v[8:9], v[10:11], v[8:9]
	v_fma_f64 v[10:11], -v[6:7], v[8:9], 1.0
	v_fma_f64 v[8:9], v[8:9], v[10:11], v[8:9]
	v_div_scale_f64 v[10:11], vcc, v[4:5], v[2:3], v[4:5]
	v_mul_f64 v[12:13], v[10:11], v[8:9]
	v_fma_f64 v[6:7], -v[6:7], v[12:13], v[10:11]
	s_nop 1
	v_div_fmas_f64 v[6:7], v[6:7], v[8:9], v[12:13]
	v_div_fixup_f64 v[4:5], v[6:7], v[2:3], v[4:5]
	v_div_scale_f64 v[6:7], s[18:19], v[2:3], v[2:3], -s[12:13]
	s_mov_b64 s[18:19], s[14:15]
	v_rcp_f64_e32 v[8:9], v[6:7]
	v_fma_f64 v[10:11], -v[6:7], v[8:9], 1.0
	v_fma_f64 v[8:9], v[8:9], v[10:11], v[8:9]
	v_fma_f64 v[10:11], -v[6:7], v[8:9], 1.0
	v_fma_f64 v[8:9], v[8:9], v[10:11], v[8:9]
	v_div_scale_f64 v[10:11], vcc, -s[12:13], v[2:3], -s[12:13]
	v_mul_f64 v[12:13], v[10:11], v[8:9]
	v_fma_f64 v[6:7], -v[6:7], v[12:13], v[10:11]
	s_nop 1
	v_div_fmas_f64 v[6:7], v[6:7], v[8:9], v[12:13]
	v_div_fixup_f64 v[6:7], v[6:7], v[2:3], -s[12:13]
	global_store_dwordx4 v18, v[4:7], s[16:17]
.LBB13_17:
	s_andn2_b64 vcc, exec, s[20:21]
	s_cbranch_vccz .LBB13_24
; %bb.18:
	s_andn2_b64 vcc, exec, s[18:19]
	s_cbranch_vccnz .LBB13_20
.LBB13_19:
	v_mov_b32_e32 v4, 0
	v_mov_b32_e32 v5, v4
	s_waitcnt vmcnt(0)
	global_store_dwordx4 v4, v[2:5], s[10:11]
.LBB13_20:
	s_or_b64 exec, exec, s[2:3]
	s_waitcnt vmcnt(0) lgkmcnt(0)
	s_barrier
	s_and_saveexec_b64 s[2:3], s[0:1]
	s_cbranch_execz .LBB13_23
; %bb.21:
	v_mad_u64_u32 v[6:7], s[0:1], s26, v0, 0
	v_mov_b32_e32 v3, 0
	s_add_i32 s9, s36, s33
	v_mov_b32_e32 v2, v7
	v_mad_u64_u32 v[7:8], s[0:1], s27, v0, v[2:3]
	s_lshl_b64 s[0:1], s[8:9], 4
	s_lshl_b64 s[2:3], s[24:25], 4
	s_add_u32 s2, s22, s2
	s_addc_u32 s3, s23, s3
	v_lshlrev_b64 v[6:7], 4, v[6:7]
	s_add_u32 s0, s2, s0
	ds_read_b128 v[2:5], v3
	s_addc_u32 s1, s3, s1
	v_mov_b32_e32 v8, s1
	v_add_co_u32_e32 v6, vcc, s0, v6
	v_addc_co_u32_e32 v7, vcc, v8, v7, vcc
	v_add_co_u32_e32 v6, vcc, 8, v6
	s_lshl_b64 s[0:1], s[26:27], 13
	v_addc_co_u32_e32 v7, vcc, 0, v7, vcc
	s_mov_b64 s[2:3], 0
	v_mov_b32_e32 v8, s1
.LBB13_22:                              ; =>This Inner Loop Header: Depth=1
	global_load_dwordx4 v[9:12], v[6:7], off offset:-8
	v_add_co_u32_e32 v0, vcc, 0x200, v0
	v_addc_co_u32_e32 v1, vcc, 0, v1, vcc
	v_cmp_le_i64_e32 vcc, s[4:5], v[0:1]
	s_or_b64 s[2:3], vcc, s[2:3]
	s_waitcnt vmcnt(0) lgkmcnt(0)
	v_mul_f64 v[13:14], v[4:5], v[11:12]
	v_mul_f64 v[15:16], v[2:3], v[11:12]
	v_fma_f64 v[11:12], v[2:3], v[9:10], -v[13:14]
	v_fma_f64 v[13:14], v[4:5], v[9:10], v[15:16]
	global_store_dwordx4 v[6:7], v[11:14], off offset:-8
	v_add_co_u32_e32 v6, vcc, s0, v6
	v_addc_co_u32_e32 v7, vcc, v7, v8, vcc
	s_andn2_b64 exec, exec, s[2:3]
	s_cbranch_execnz .LBB13_22
.LBB13_23:
	s_endpgm
.LBB13_24:
	v_mov_b32_e32 v4, 0
	s_waitcnt vmcnt(0)
	global_store_dwordx2 v4, v[2:3], s[34:35]
	v_mov_b32_e32 v2, 0
	v_mov_b32_e32 v3, 0x3ff00000
	s_branch .LBB13_19
	.section	.rodata,"a",@progbits
	.p2align	6, 0x0
	.amdhsa_kernel _ZN9rocsolver6v33100L18larfg_kernel_smallILi512E19rocblas_complex_numIdEldPS3_EEvT1_T3_llPT2_llS6_lS5_lPT0_l
		.amdhsa_group_segment_fixed_size 128
		.amdhsa_private_segment_fixed_size 0
		.amdhsa_kernarg_size 104
		.amdhsa_user_sgpr_count 6
		.amdhsa_user_sgpr_private_segment_buffer 1
		.amdhsa_user_sgpr_dispatch_ptr 0
		.amdhsa_user_sgpr_queue_ptr 0
		.amdhsa_user_sgpr_kernarg_segment_ptr 1
		.amdhsa_user_sgpr_dispatch_id 0
		.amdhsa_user_sgpr_flat_scratch_init 0
		.amdhsa_user_sgpr_private_segment_size 0
		.amdhsa_uses_dynamic_stack 0
		.amdhsa_system_sgpr_private_segment_wavefront_offset 0
		.amdhsa_system_sgpr_workgroup_id_x 1
		.amdhsa_system_sgpr_workgroup_id_y 0
		.amdhsa_system_sgpr_workgroup_id_z 1
		.amdhsa_system_sgpr_workgroup_info 0
		.amdhsa_system_vgpr_workitem_id 0
		.amdhsa_next_free_vgpr 19
		.amdhsa_next_free_sgpr 37
		.amdhsa_reserve_vcc 1
		.amdhsa_reserve_flat_scratch 0
		.amdhsa_float_round_mode_32 0
		.amdhsa_float_round_mode_16_64 0
		.amdhsa_float_denorm_mode_32 3
		.amdhsa_float_denorm_mode_16_64 3
		.amdhsa_dx10_clamp 1
		.amdhsa_ieee_mode 1
		.amdhsa_fp16_overflow 0
		.amdhsa_exception_fp_ieee_invalid_op 0
		.amdhsa_exception_fp_denorm_src 0
		.amdhsa_exception_fp_ieee_div_zero 0
		.amdhsa_exception_fp_ieee_overflow 0
		.amdhsa_exception_fp_ieee_underflow 0
		.amdhsa_exception_fp_ieee_inexact 0
		.amdhsa_exception_int_div_zero 0
	.end_amdhsa_kernel
	.section	.text._ZN9rocsolver6v33100L18larfg_kernel_smallILi512E19rocblas_complex_numIdEldPS3_EEvT1_T3_llPT2_llS6_lS5_lPT0_l,"axG",@progbits,_ZN9rocsolver6v33100L18larfg_kernel_smallILi512E19rocblas_complex_numIdEldPS3_EEvT1_T3_llPT2_llS6_lS5_lPT0_l,comdat
.Lfunc_end13:
	.size	_ZN9rocsolver6v33100L18larfg_kernel_smallILi512E19rocblas_complex_numIdEldPS3_EEvT1_T3_llPT2_llS6_lS5_lPT0_l, .Lfunc_end13-_ZN9rocsolver6v33100L18larfg_kernel_smallILi512E19rocblas_complex_numIdEldPS3_EEvT1_T3_llPT2_llS6_lS5_lPT0_l
                                        ; -- End function
	.set _ZN9rocsolver6v33100L18larfg_kernel_smallILi512E19rocblas_complex_numIdEldPS3_EEvT1_T3_llPT2_llS6_lS5_lPT0_l.num_vgpr, 19
	.set _ZN9rocsolver6v33100L18larfg_kernel_smallILi512E19rocblas_complex_numIdEldPS3_EEvT1_T3_llPT2_llS6_lS5_lPT0_l.num_agpr, 0
	.set _ZN9rocsolver6v33100L18larfg_kernel_smallILi512E19rocblas_complex_numIdEldPS3_EEvT1_T3_llPT2_llS6_lS5_lPT0_l.numbered_sgpr, 37
	.set _ZN9rocsolver6v33100L18larfg_kernel_smallILi512E19rocblas_complex_numIdEldPS3_EEvT1_T3_llPT2_llS6_lS5_lPT0_l.num_named_barrier, 0
	.set _ZN9rocsolver6v33100L18larfg_kernel_smallILi512E19rocblas_complex_numIdEldPS3_EEvT1_T3_llPT2_llS6_lS5_lPT0_l.private_seg_size, 0
	.set _ZN9rocsolver6v33100L18larfg_kernel_smallILi512E19rocblas_complex_numIdEldPS3_EEvT1_T3_llPT2_llS6_lS5_lPT0_l.uses_vcc, 1
	.set _ZN9rocsolver6v33100L18larfg_kernel_smallILi512E19rocblas_complex_numIdEldPS3_EEvT1_T3_llPT2_llS6_lS5_lPT0_l.uses_flat_scratch, 0
	.set _ZN9rocsolver6v33100L18larfg_kernel_smallILi512E19rocblas_complex_numIdEldPS3_EEvT1_T3_llPT2_llS6_lS5_lPT0_l.has_dyn_sized_stack, 0
	.set _ZN9rocsolver6v33100L18larfg_kernel_smallILi512E19rocblas_complex_numIdEldPS3_EEvT1_T3_llPT2_llS6_lS5_lPT0_l.has_recursion, 0
	.set _ZN9rocsolver6v33100L18larfg_kernel_smallILi512E19rocblas_complex_numIdEldPS3_EEvT1_T3_llPT2_llS6_lS5_lPT0_l.has_indirect_call, 0
	.section	.AMDGPU.csdata,"",@progbits
; Kernel info:
; codeLenInByte = 2200
; TotalNumSgprs: 41
; NumVgprs: 19
; ScratchSize: 0
; MemoryBound: 0
; FloatMode: 240
; IeeeMode: 1
; LDSByteSize: 128 bytes/workgroup (compile time only)
; SGPRBlocks: 5
; VGPRBlocks: 4
; NumSGPRsForWavesPerEU: 41
; NumVGPRsForWavesPerEU: 19
; Occupancy: 10
; WaveLimiterHint : 0
; COMPUTE_PGM_RSRC2:SCRATCH_EN: 0
; COMPUTE_PGM_RSRC2:USER_SGPR: 6
; COMPUTE_PGM_RSRC2:TRAP_HANDLER: 0
; COMPUTE_PGM_RSRC2:TGID_X_EN: 1
; COMPUTE_PGM_RSRC2:TGID_Y_EN: 0
; COMPUTE_PGM_RSRC2:TGID_Z_EN: 1
; COMPUTE_PGM_RSRC2:TIDIG_COMP_CNT: 0
	.section	.text._ZN9rocsolver6v33100L18larfg_kernel_smallILi1024E19rocblas_complex_numIdEldPS3_EEvT1_T3_llPT2_llS6_lS5_lPT0_l,"axG",@progbits,_ZN9rocsolver6v33100L18larfg_kernel_smallILi1024E19rocblas_complex_numIdEldPS3_EEvT1_T3_llPT2_llS6_lS5_lPT0_l,comdat
	.globl	_ZN9rocsolver6v33100L18larfg_kernel_smallILi1024E19rocblas_complex_numIdEldPS3_EEvT1_T3_llPT2_llS6_lS5_lPT0_l ; -- Begin function _ZN9rocsolver6v33100L18larfg_kernel_smallILi1024E19rocblas_complex_numIdEldPS3_EEvT1_T3_llPT2_llS6_lS5_lPT0_l
	.p2align	8
	.type	_ZN9rocsolver6v33100L18larfg_kernel_smallILi1024E19rocblas_complex_numIdEldPS3_EEvT1_T3_llPT2_llS6_lS5_lPT0_l,@function
_ZN9rocsolver6v33100L18larfg_kernel_smallILi1024E19rocblas_complex_numIdEldPS3_EEvT1_T3_llPT2_llS6_lS5_lPT0_l: ; @_ZN9rocsolver6v33100L18larfg_kernel_smallILi1024E19rocblas_complex_numIdEldPS3_EEvT1_T3_llPT2_llS6_lS5_lPT0_l
; %bb.0:
	s_load_dwordx16 s[8:23], s[4:5], 0x0
	s_mov_b64 s[34:35], 0
	s_waitcnt lgkmcnt(0)
	s_cmp_eq_u64 s[16:17], 0
	s_cbranch_scc1 .LBB14_2
; %bb.1:
	s_mul_i32 s0, s21, s7
	s_mul_hi_u32 s1, s20, s7
	s_add_i32 s1, s1, s0
	s_mul_i32 s0, s20, s7
	s_lshl_b64 s[0:1], s[0:1], 3
	s_add_u32 s2, s16, s0
	s_addc_u32 s3, s17, s1
	s_lshl_b64 s[0:1], s[18:19], 3
	s_add_u32 s34, s2, s0
	s_addc_u32 s35, s3, s1
.LBB14_2:
	s_load_dwordx8 s[24:31], s[4:5], 0x40
	s_load_dwordx2 s[16:17], s[4:5], 0x60
	s_add_u32 s4, s8, -1
	v_mov_b32_e32 v1, 0
	s_addc_u32 s5, s9, -1
	v_cmp_gt_i64_e64 s[0:1], s[4:5], v[0:1]
	v_mov_b32_e32 v2, 0
	v_mov_b32_e32 v4, 0
	;; [unrolled: 1-line block ×3, first 2 shown]
	s_waitcnt lgkmcnt(0)
	s_mul_i32 s33, s29, s7
	s_mul_hi_u32 s36, s28, s7
	v_mov_b32_e32 v5, 0
	s_mul_i32 s8, s28, s7
	s_and_saveexec_b64 s[18:19], s[0:1]
	s_cbranch_execz .LBB14_6
; %bb.3:
	v_mad_u64_u32 v[2:3], s[2:3], s26, v0, 0
	s_add_i32 s9, s36, s33
	s_lshl_b64 s[20:21], s[8:9], 4
	v_mad_u64_u32 v[3:4], s[2:3], s27, v0, v[3:4]
	s_lshl_b64 s[2:3], s[24:25], 4
	s_add_u32 s2, s22, s2
	s_addc_u32 s3, s23, s3
	v_lshlrev_b64 v[2:3], 4, v[2:3]
	s_add_u32 s2, s2, s20
	s_addc_u32 s3, s3, s21
	v_mov_b32_e32 v4, s3
	v_add_co_u32_e32 v6, vcc, s2, v2
	v_addc_co_u32_e32 v7, vcc, v4, v3, vcc
	s_lshl_b64 s[20:21], s[26:27], 14
	v_mov_b32_e32 v2, 0
	v_mov_b32_e32 v4, 0
	;; [unrolled: 1-line block ×4, first 2 shown]
	s_mov_b64 s[28:29], 0
	v_mov_b32_e32 v10, s21
	v_mov_b32_e32 v5, 0
	;; [unrolled: 1-line block ×3, first 2 shown]
.LBB14_4:                               ; =>This Inner Loop Header: Depth=1
	global_load_dwordx4 v[11:14], v[6:7], off
	v_add_co_u32_e32 v8, vcc, 0x400, v8
	v_addc_co_u32_e32 v9, vcc, 0, v9, vcc
	v_cmp_le_i64_e32 vcc, s[4:5], v[8:9]
	v_add_co_u32_e64 v6, s[2:3], s20, v6
	s_or_b64 s[28:29], vcc, s[28:29]
	v_addc_co_u32_e64 v7, vcc, v7, v10, s[2:3]
	s_waitcnt vmcnt(0)
	v_mul_f64 v[15:16], v[13:14], v[13:14]
	v_mul_f64 v[17:18], v[11:12], v[13:14]
	v_fma_f64 v[15:16], v[11:12], v[11:12], v[15:16]
	v_fma_f64 v[11:12], v[11:12], v[13:14], -v[17:18]
	v_add_f64 v[4:5], v[4:5], v[15:16]
	v_add_f64 v[2:3], v[2:3], v[11:12]
	s_andn2_b64 exec, exec, s[28:29]
	s_cbranch_execnz .LBB14_4
; %bb.5:
	s_or_b64 exec, exec, s[28:29]
.LBB14_6:
	s_or_b64 exec, exec, s[18:19]
	v_mbcnt_lo_u32_b32 v6, -1, 0
	v_mbcnt_hi_u32_b32 v10, -1, v6
	v_and_b32_e32 v11, 63, v10
	v_cmp_ne_u32_e32 vcc, 63, v11
	v_addc_co_u32_e32 v6, vcc, 0, v10, vcc
	v_lshlrev_b32_e32 v9, 2, v6
	ds_bpermute_b32 v6, v9, v4
	ds_bpermute_b32 v7, v9, v5
	;; [unrolled: 1-line block ×4, first 2 shown]
	v_cmp_gt_u32_e32 vcc, 62, v11
	s_waitcnt lgkmcnt(2)
	v_add_f64 v[4:5], v[4:5], v[6:7]
	v_cndmask_b32_e64 v6, 0, 2, vcc
	s_waitcnt lgkmcnt(0)
	v_add_f64 v[2:3], v[2:3], v[8:9]
	v_add_lshl_u32 v9, v6, v10, 2
	v_cmp_gt_u32_e32 vcc, 60, v11
	ds_bpermute_b32 v6, v9, v4
	ds_bpermute_b32 v7, v9, v5
	ds_bpermute_b32 v8, v9, v2
	ds_bpermute_b32 v9, v9, v3
	s_waitcnt lgkmcnt(2)
	v_add_f64 v[4:5], v[4:5], v[6:7]
	v_cndmask_b32_e64 v6, 0, 4, vcc
	s_waitcnt lgkmcnt(0)
	v_add_f64 v[2:3], v[2:3], v[8:9]
	v_add_lshl_u32 v9, v6, v10, 2
	v_cmp_gt_u32_e32 vcc, 56, v11
	ds_bpermute_b32 v6, v9, v4
	ds_bpermute_b32 v7, v9, v5
	ds_bpermute_b32 v8, v9, v2
	ds_bpermute_b32 v9, v9, v3
	s_waitcnt lgkmcnt(2)
	v_add_f64 v[4:5], v[4:5], v[6:7]
	v_cndmask_b32_e64 v6, 0, 8, vcc
	s_waitcnt lgkmcnt(0)
	v_add_f64 v[2:3], v[2:3], v[8:9]
	v_add_lshl_u32 v9, v6, v10, 2
	v_cmp_gt_u32_e32 vcc, 48, v11
	ds_bpermute_b32 v6, v9, v4
	ds_bpermute_b32 v7, v9, v5
	ds_bpermute_b32 v8, v9, v2
	ds_bpermute_b32 v9, v9, v3
	s_waitcnt lgkmcnt(2)
	v_add_f64 v[4:5], v[4:5], v[6:7]
	v_cndmask_b32_e64 v6, 0, 16, vcc
	s_waitcnt lgkmcnt(0)
	v_add_f64 v[2:3], v[2:3], v[8:9]
	v_add_lshl_u32 v9, v6, v10, 2
	ds_bpermute_b32 v6, v9, v4
	ds_bpermute_b32 v7, v9, v5
	;; [unrolled: 1-line block ×4, first 2 shown]
	s_waitcnt lgkmcnt(2)
	v_add_f64 v[4:5], v[4:5], v[6:7]
	s_waitcnt lgkmcnt(0)
	v_add_f64 v[6:7], v[2:3], v[8:9]
	v_mov_b32_e32 v2, 0x80
	v_lshl_or_b32 v9, v10, 2, v2
	ds_bpermute_b32 v2, v9, v4
	ds_bpermute_b32 v3, v9, v5
	;; [unrolled: 1-line block ×4, first 2 shown]
	s_waitcnt lgkmcnt(2)
	v_add_f64 v[2:3], v[4:5], v[2:3]
	s_waitcnt lgkmcnt(0)
	v_add_f64 v[4:5], v[6:7], v[8:9]
	v_and_b32_e32 v6, 63, v0
	v_cmp_eq_u32_e32 vcc, 0, v6
	s_and_saveexec_b64 s[2:3], vcc
; %bb.7:
	v_lshrrev_b32_e32 v6, 2, v0
	ds_write_b128 v6, v[2:5]
; %bb.8:
	s_or_b64 exec, exec, s[2:3]
	v_cmp_eq_u32_e32 vcc, 0, v0
	s_waitcnt lgkmcnt(0)
	s_barrier
	s_and_saveexec_b64 s[2:3], vcc
	s_cbranch_execz .LBB14_10
; %bb.9:
	v_mov_b32_e32 v14, 0
	ds_read_b128 v[6:9], v14 offset:16
	ds_read_b128 v[10:13], v14 offset:32
	s_waitcnt lgkmcnt(1)
	v_add_f64 v[2:3], v[2:3], v[6:7]
	v_add_f64 v[4:5], v[4:5], v[8:9]
	s_waitcnt lgkmcnt(0)
	v_add_f64 v[10:11], v[2:3], v[10:11]
	v_add_f64 v[12:13], v[4:5], v[12:13]
	ds_read_b128 v[2:5], v14 offset:48
	ds_read_b128 v[6:9], v14 offset:64
	s_waitcnt lgkmcnt(1)
	v_add_f64 v[2:3], v[10:11], v[2:3]
	v_add_f64 v[4:5], v[12:13], v[4:5]
	s_waitcnt lgkmcnt(0)
	v_add_f64 v[10:11], v[2:3], v[6:7]
	v_add_f64 v[12:13], v[4:5], v[8:9]
	;; [unrolled: 8-line block ×7, first 2 shown]
	ds_read_b128 v[2:5], v14 offset:240
	s_waitcnt lgkmcnt(0)
	v_add_f64 v[2:3], v[6:7], v[2:3]
	v_add_f64 v[4:5], v[8:9], v[4:5]
	ds_write_b128 v14, v[2:5]
.LBB14_10:
	s_or_b64 exec, exec, s[2:3]
	s_waitcnt lgkmcnt(0)
	s_barrier
	s_and_saveexec_b64 s[2:3], vcc
	s_cbranch_execz .LBB14_20
; %bb.11:
	s_mul_i32 s6, s15, s7
	s_mul_hi_u32 s9, s14, s7
	s_add_i32 s15, s9, s6
	s_mul_i32 s14, s14, s7
	s_lshl_b64 s[14:15], s[14:15], 4
	s_add_u32 s6, s10, s14
	s_addc_u32 s9, s11, s15
	s_lshl_b64 s[10:11], s[12:13], 4
	s_add_u32 s10, s6, s10
	s_addc_u32 s11, s9, s11
	v_mov_b32_e32 v2, 0
	s_load_dwordx2 s[12:13], s[10:11], 0x8
	ds_read_b64 v[8:9], v2
	s_mul_i32 s6, s17, s7
	s_mul_hi_u32 s9, s16, s7
	s_add_i32 s15, s9, s6
	s_waitcnt lgkmcnt(0)
	v_mul_f64 v[6:7], s[12:13], s[12:13]
	v_max_f64 v[3:4], v[8:9], v[8:9]
	s_mul_i32 s14, s16, s7
	s_lshl_b64 s[6:7], s[14:15], 4
	s_add_u32 s16, s30, s6
	s_addc_u32 s17, s31, s7
	s_cmp_eq_u64 s[34:35], 0
	s_cselect_b64 s[14:15], -1, 0
	s_cmp_lg_u64 s[34:35], 0
	v_max_f64 v[3:4], v[3:4], v[6:7]
	s_mov_b64 s[18:19], 0
	s_cselect_b64 s[6:7], -1, 0
	v_cmp_nlt_f64_e32 vcc, 0, v[3:4]
	s_cbranch_vccz .LBB14_14
; %bb.12:
	v_mov_b32_e32 v3, 0x3ff00000
	v_mov_b32_e32 v4, v2
	;; [unrolled: 1-line block ×3, first 2 shown]
	ds_write_b128 v2, v[2:5]
	v_mov_b32_e32 v3, v2
	s_mov_b64 s[28:29], 0
	s_and_b64 vcc, exec, s[6:7]
	global_store_dwordx4 v2, v[2:5], s[16:17]
                                        ; implicit-def: $vgpr4_vgpr5
	s_cbranch_vccz .LBB14_15
; %bb.13:
	v_mov_b32_e32 v2, 0
	global_load_dwordx2 v[2:3], v2, s[10:11]
	s_mov_b64 s[20:21], -1
	s_and_b64 vcc, exec, s[28:29]
	s_cbranch_vccnz .LBB14_16
	s_branch .LBB14_17
.LBB14_14:
	s_mov_b64 s[28:29], -1
.LBB14_15:
	s_mov_b64 s[20:21], 0
                                        ; implicit-def: $vgpr2_vgpr3
	s_and_b64 vcc, exec, s[28:29]
	s_cbranch_vccz .LBB14_17
.LBB14_16:
	v_mov_b32_e32 v18, 0
	global_load_dwordx2 v[10:11], v18, s[10:11]
	s_mov_b32 s18, 0
	s_brev_b32 s19, 8
	s_mov_b64 s[20:21], s[6:7]
	s_waitcnt vmcnt(0)
	v_fma_f64 v[2:3], v[10:11], v[10:11], v[6:7]
	v_add_f64 v[2:3], v[8:9], v[2:3]
	v_cmp_gt_f64_e32 vcc, s[18:19], v[2:3]
	s_and_b64 s[18:19], vcc, exec
	s_cselect_b32 s9, 0x100, 0
	v_ldexp_f64 v[2:3], v[2:3], s9
	s_cselect_b32 s9, 0xffffff80, 0
	v_rsq_f64_e32 v[4:5], v[2:3]
	v_mul_f64 v[8:9], v[2:3], v[4:5]
	v_mul_f64 v[4:5], v[4:5], 0.5
	v_fma_f64 v[12:13], -v[4:5], v[8:9], 0.5
	v_fma_f64 v[8:9], v[8:9], v[12:13], v[8:9]
	v_fma_f64 v[4:5], v[4:5], v[12:13], v[4:5]
	v_fma_f64 v[14:15], -v[8:9], v[8:9], v[2:3]
	v_fma_f64 v[8:9], v[14:15], v[4:5], v[8:9]
	v_fma_f64 v[12:13], -v[8:9], v[8:9], v[2:3]
	v_fma_f64 v[4:5], v[12:13], v[4:5], v[8:9]
	v_mov_b32_e32 v8, 0x260
	v_cmp_class_f64_e32 vcc, v[2:3], v8
	v_ldexp_f64 v[4:5], v[4:5], s9
	v_cndmask_b32_e32 v2, v4, v2, vcc
	v_cndmask_b32_e32 v3, v5, v3, vcc
	v_cmp_le_f64_e32 vcc, 0, v[10:11]
	v_xor_b32_e32 v4, 0x80000000, v3
	v_cndmask_b32_e32 v3, v3, v4, vcc
	v_add_f64 v[4:5], v[10:11], -v[2:3]
	v_fma_f64 v[6:7], v[4:5], v[4:5], v[6:7]
	v_div_scale_f64 v[8:9], s[18:19], v[6:7], v[6:7], v[4:5]
	v_rcp_f64_e32 v[12:13], v[8:9]
	v_fma_f64 v[14:15], -v[8:9], v[12:13], 1.0
	v_fma_f64 v[12:13], v[12:13], v[14:15], v[12:13]
	v_fma_f64 v[14:15], -v[8:9], v[12:13], 1.0
	v_fma_f64 v[12:13], v[12:13], v[14:15], v[12:13]
	v_div_scale_f64 v[14:15], vcc, v[4:5], v[6:7], v[4:5]
	v_mul_f64 v[16:17], v[14:15], v[12:13]
	v_fma_f64 v[8:9], -v[8:9], v[16:17], v[14:15]
	s_nop 1
	v_div_fmas_f64 v[8:9], v[8:9], v[12:13], v[16:17]
	v_div_fixup_f64 v[4:5], v[8:9], v[6:7], v[4:5]
	v_div_scale_f64 v[8:9], s[18:19], v[6:7], v[6:7], -s[12:13]
	v_rcp_f64_e32 v[12:13], v[8:9]
	v_fma_f64 v[14:15], -v[8:9], v[12:13], 1.0
	v_fma_f64 v[12:13], v[12:13], v[14:15], v[12:13]
	v_fma_f64 v[14:15], -v[8:9], v[12:13], 1.0
	v_fma_f64 v[12:13], v[12:13], v[14:15], v[12:13]
	v_div_scale_f64 v[14:15], vcc, -s[12:13], v[6:7], -s[12:13]
	v_mul_f64 v[16:17], v[14:15], v[12:13]
	v_fma_f64 v[8:9], -v[8:9], v[16:17], v[14:15]
	s_nop 1
	v_div_fmas_f64 v[8:9], v[8:9], v[12:13], v[16:17]
	v_div_fixup_f64 v[6:7], v[8:9], v[6:7], -s[12:13]
	ds_write_b128 v18, v[4:7]
	v_add_f64 v[4:5], v[2:3], -v[10:11]
	v_div_scale_f64 v[6:7], s[18:19], v[2:3], v[2:3], v[4:5]
	v_rcp_f64_e32 v[8:9], v[6:7]
	v_fma_f64 v[10:11], -v[6:7], v[8:9], 1.0
	v_fma_f64 v[8:9], v[8:9], v[10:11], v[8:9]
	v_fma_f64 v[10:11], -v[6:7], v[8:9], 1.0
	v_fma_f64 v[8:9], v[8:9], v[10:11], v[8:9]
	v_div_scale_f64 v[10:11], vcc, v[4:5], v[2:3], v[4:5]
	v_mul_f64 v[12:13], v[10:11], v[8:9]
	v_fma_f64 v[6:7], -v[6:7], v[12:13], v[10:11]
	s_nop 1
	v_div_fmas_f64 v[6:7], v[6:7], v[8:9], v[12:13]
	v_div_fixup_f64 v[4:5], v[6:7], v[2:3], v[4:5]
	v_div_scale_f64 v[6:7], s[18:19], v[2:3], v[2:3], -s[12:13]
	s_mov_b64 s[18:19], s[14:15]
	v_rcp_f64_e32 v[8:9], v[6:7]
	v_fma_f64 v[10:11], -v[6:7], v[8:9], 1.0
	v_fma_f64 v[8:9], v[8:9], v[10:11], v[8:9]
	v_fma_f64 v[10:11], -v[6:7], v[8:9], 1.0
	v_fma_f64 v[8:9], v[8:9], v[10:11], v[8:9]
	v_div_scale_f64 v[10:11], vcc, -s[12:13], v[2:3], -s[12:13]
	v_mul_f64 v[12:13], v[10:11], v[8:9]
	v_fma_f64 v[6:7], -v[6:7], v[12:13], v[10:11]
	s_nop 1
	v_div_fmas_f64 v[6:7], v[6:7], v[8:9], v[12:13]
	v_div_fixup_f64 v[6:7], v[6:7], v[2:3], -s[12:13]
	global_store_dwordx4 v18, v[4:7], s[16:17]
.LBB14_17:
	s_andn2_b64 vcc, exec, s[20:21]
	s_cbranch_vccz .LBB14_24
; %bb.18:
	s_andn2_b64 vcc, exec, s[18:19]
	s_cbranch_vccnz .LBB14_20
.LBB14_19:
	v_mov_b32_e32 v4, 0
	v_mov_b32_e32 v5, v4
	s_waitcnt vmcnt(0)
	global_store_dwordx4 v4, v[2:5], s[10:11]
.LBB14_20:
	s_or_b64 exec, exec, s[2:3]
	s_waitcnt vmcnt(0) lgkmcnt(0)
	s_barrier
	s_and_saveexec_b64 s[2:3], s[0:1]
	s_cbranch_execz .LBB14_23
; %bb.21:
	v_mad_u64_u32 v[6:7], s[0:1], s26, v0, 0
	v_mov_b32_e32 v3, 0
	s_add_i32 s9, s36, s33
	v_mov_b32_e32 v2, v7
	v_mad_u64_u32 v[7:8], s[0:1], s27, v0, v[2:3]
	s_lshl_b64 s[0:1], s[8:9], 4
	s_lshl_b64 s[2:3], s[24:25], 4
	s_add_u32 s2, s22, s2
	s_addc_u32 s3, s23, s3
	v_lshlrev_b64 v[6:7], 4, v[6:7]
	s_add_u32 s0, s2, s0
	ds_read_b128 v[2:5], v3
	s_addc_u32 s1, s3, s1
	v_mov_b32_e32 v8, s1
	v_add_co_u32_e32 v6, vcc, s0, v6
	v_addc_co_u32_e32 v7, vcc, v8, v7, vcc
	v_add_co_u32_e32 v6, vcc, 8, v6
	s_lshl_b64 s[0:1], s[26:27], 14
	v_addc_co_u32_e32 v7, vcc, 0, v7, vcc
	s_mov_b64 s[2:3], 0
	v_mov_b32_e32 v8, s1
.LBB14_22:                              ; =>This Inner Loop Header: Depth=1
	global_load_dwordx4 v[9:12], v[6:7], off offset:-8
	v_add_co_u32_e32 v0, vcc, 0x400, v0
	v_addc_co_u32_e32 v1, vcc, 0, v1, vcc
	v_cmp_le_i64_e32 vcc, s[4:5], v[0:1]
	s_or_b64 s[2:3], vcc, s[2:3]
	s_waitcnt vmcnt(0) lgkmcnt(0)
	v_mul_f64 v[13:14], v[4:5], v[11:12]
	v_mul_f64 v[15:16], v[2:3], v[11:12]
	v_fma_f64 v[11:12], v[2:3], v[9:10], -v[13:14]
	v_fma_f64 v[13:14], v[4:5], v[9:10], v[15:16]
	global_store_dwordx4 v[6:7], v[11:14], off offset:-8
	v_add_co_u32_e32 v6, vcc, s0, v6
	v_addc_co_u32_e32 v7, vcc, v7, v8, vcc
	s_andn2_b64 exec, exec, s[2:3]
	s_cbranch_execnz .LBB14_22
.LBB14_23:
	s_endpgm
.LBB14_24:
	v_mov_b32_e32 v4, 0
	s_waitcnt vmcnt(0)
	global_store_dwordx2 v4, v[2:3], s[34:35]
	v_mov_b32_e32 v2, 0
	v_mov_b32_e32 v3, 0x3ff00000
	s_branch .LBB14_19
	.section	.rodata,"a",@progbits
	.p2align	6, 0x0
	.amdhsa_kernel _ZN9rocsolver6v33100L18larfg_kernel_smallILi1024E19rocblas_complex_numIdEldPS3_EEvT1_T3_llPT2_llS6_lS5_lPT0_l
		.amdhsa_group_segment_fixed_size 256
		.amdhsa_private_segment_fixed_size 0
		.amdhsa_kernarg_size 104
		.amdhsa_user_sgpr_count 6
		.amdhsa_user_sgpr_private_segment_buffer 1
		.amdhsa_user_sgpr_dispatch_ptr 0
		.amdhsa_user_sgpr_queue_ptr 0
		.amdhsa_user_sgpr_kernarg_segment_ptr 1
		.amdhsa_user_sgpr_dispatch_id 0
		.amdhsa_user_sgpr_flat_scratch_init 0
		.amdhsa_user_sgpr_private_segment_size 0
		.amdhsa_uses_dynamic_stack 0
		.amdhsa_system_sgpr_private_segment_wavefront_offset 0
		.amdhsa_system_sgpr_workgroup_id_x 1
		.amdhsa_system_sgpr_workgroup_id_y 0
		.amdhsa_system_sgpr_workgroup_id_z 1
		.amdhsa_system_sgpr_workgroup_info 0
		.amdhsa_system_vgpr_workitem_id 0
		.amdhsa_next_free_vgpr 19
		.amdhsa_next_free_sgpr 37
		.amdhsa_reserve_vcc 1
		.amdhsa_reserve_flat_scratch 0
		.amdhsa_float_round_mode_32 0
		.amdhsa_float_round_mode_16_64 0
		.amdhsa_float_denorm_mode_32 3
		.amdhsa_float_denorm_mode_16_64 3
		.amdhsa_dx10_clamp 1
		.amdhsa_ieee_mode 1
		.amdhsa_fp16_overflow 0
		.amdhsa_exception_fp_ieee_invalid_op 0
		.amdhsa_exception_fp_denorm_src 0
		.amdhsa_exception_fp_ieee_div_zero 0
		.amdhsa_exception_fp_ieee_overflow 0
		.amdhsa_exception_fp_ieee_underflow 0
		.amdhsa_exception_fp_ieee_inexact 0
		.amdhsa_exception_int_div_zero 0
	.end_amdhsa_kernel
	.section	.text._ZN9rocsolver6v33100L18larfg_kernel_smallILi1024E19rocblas_complex_numIdEldPS3_EEvT1_T3_llPT2_llS6_lS5_lPT0_l,"axG",@progbits,_ZN9rocsolver6v33100L18larfg_kernel_smallILi1024E19rocblas_complex_numIdEldPS3_EEvT1_T3_llPT2_llS6_lS5_lPT0_l,comdat
.Lfunc_end14:
	.size	_ZN9rocsolver6v33100L18larfg_kernel_smallILi1024E19rocblas_complex_numIdEldPS3_EEvT1_T3_llPT2_llS6_lS5_lPT0_l, .Lfunc_end14-_ZN9rocsolver6v33100L18larfg_kernel_smallILi1024E19rocblas_complex_numIdEldPS3_EEvT1_T3_llPT2_llS6_lS5_lPT0_l
                                        ; -- End function
	.set _ZN9rocsolver6v33100L18larfg_kernel_smallILi1024E19rocblas_complex_numIdEldPS3_EEvT1_T3_llPT2_llS6_lS5_lPT0_l.num_vgpr, 19
	.set _ZN9rocsolver6v33100L18larfg_kernel_smallILi1024E19rocblas_complex_numIdEldPS3_EEvT1_T3_llPT2_llS6_lS5_lPT0_l.num_agpr, 0
	.set _ZN9rocsolver6v33100L18larfg_kernel_smallILi1024E19rocblas_complex_numIdEldPS3_EEvT1_T3_llPT2_llS6_lS5_lPT0_l.numbered_sgpr, 37
	.set _ZN9rocsolver6v33100L18larfg_kernel_smallILi1024E19rocblas_complex_numIdEldPS3_EEvT1_T3_llPT2_llS6_lS5_lPT0_l.num_named_barrier, 0
	.set _ZN9rocsolver6v33100L18larfg_kernel_smallILi1024E19rocblas_complex_numIdEldPS3_EEvT1_T3_llPT2_llS6_lS5_lPT0_l.private_seg_size, 0
	.set _ZN9rocsolver6v33100L18larfg_kernel_smallILi1024E19rocblas_complex_numIdEldPS3_EEvT1_T3_llPT2_llS6_lS5_lPT0_l.uses_vcc, 1
	.set _ZN9rocsolver6v33100L18larfg_kernel_smallILi1024E19rocblas_complex_numIdEldPS3_EEvT1_T3_llPT2_llS6_lS5_lPT0_l.uses_flat_scratch, 0
	.set _ZN9rocsolver6v33100L18larfg_kernel_smallILi1024E19rocblas_complex_numIdEldPS3_EEvT1_T3_llPT2_llS6_lS5_lPT0_l.has_dyn_sized_stack, 0
	.set _ZN9rocsolver6v33100L18larfg_kernel_smallILi1024E19rocblas_complex_numIdEldPS3_EEvT1_T3_llPT2_llS6_lS5_lPT0_l.has_recursion, 0
	.set _ZN9rocsolver6v33100L18larfg_kernel_smallILi1024E19rocblas_complex_numIdEldPS3_EEvT1_T3_llPT2_llS6_lS5_lPT0_l.has_indirect_call, 0
	.section	.AMDGPU.csdata,"",@progbits
; Kernel info:
; codeLenInByte = 2424
; TotalNumSgprs: 41
; NumVgprs: 19
; ScratchSize: 0
; MemoryBound: 0
; FloatMode: 240
; IeeeMode: 1
; LDSByteSize: 256 bytes/workgroup (compile time only)
; SGPRBlocks: 5
; VGPRBlocks: 4
; NumSGPRsForWavesPerEU: 41
; NumVGPRsForWavesPerEU: 19
; Occupancy: 10
; WaveLimiterHint : 0
; COMPUTE_PGM_RSRC2:SCRATCH_EN: 0
; COMPUTE_PGM_RSRC2:USER_SGPR: 6
; COMPUTE_PGM_RSRC2:TRAP_HANDLER: 0
; COMPUTE_PGM_RSRC2:TGID_X_EN: 1
; COMPUTE_PGM_RSRC2:TGID_Y_EN: 0
; COMPUTE_PGM_RSRC2:TGID_Z_EN: 1
; COMPUTE_PGM_RSRC2:TIDIG_COMP_CNT: 0
	.section	.text._ZN9rocsolver6v33100L18larfg_kernel_smallILi64E19rocblas_complex_numIdEldPKPS3_EEvT1_T3_llPT2_llS8_lS7_lPT0_l,"axG",@progbits,_ZN9rocsolver6v33100L18larfg_kernel_smallILi64E19rocblas_complex_numIdEldPKPS3_EEvT1_T3_llPT2_llS8_lS7_lPT0_l,comdat
	.globl	_ZN9rocsolver6v33100L18larfg_kernel_smallILi64E19rocblas_complex_numIdEldPKPS3_EEvT1_T3_llPT2_llS8_lS7_lPT0_l ; -- Begin function _ZN9rocsolver6v33100L18larfg_kernel_smallILi64E19rocblas_complex_numIdEldPKPS3_EEvT1_T3_llPT2_llS8_lS7_lPT0_l
	.p2align	8
	.type	_ZN9rocsolver6v33100L18larfg_kernel_smallILi64E19rocblas_complex_numIdEldPKPS3_EEvT1_T3_llPT2_llS8_lS7_lPT0_l,@function
_ZN9rocsolver6v33100L18larfg_kernel_smallILi64E19rocblas_complex_numIdEldPKPS3_EEvT1_T3_llPT2_llS8_lS7_lPT0_l: ; @_ZN9rocsolver6v33100L18larfg_kernel_smallILi64E19rocblas_complex_numIdEldPKPS3_EEvT1_T3_llPT2_llS8_lS7_lPT0_l
; %bb.0:
	s_mov_b32 s22, s7
	s_load_dwordx4 s[0:3], s[4:5], 0x0
	s_load_dwordx2 s[24:25], s[4:5], 0x10
	s_load_dwordx8 s[8:15], s[4:5], 0x20
	s_load_dwordx4 s[16:19], s[4:5], 0x40
	s_mov_b32 s23, 0
	s_lshl_b64 s[6:7], s[22:23], 3
	s_waitcnt lgkmcnt(0)
	s_add_u32 s2, s2, s6
	s_addc_u32 s3, s3, s7
	s_add_u32 s6, s14, s6
	s_addc_u32 s7, s15, s7
	s_load_dwordx2 s[14:15], s[6:7], 0x0
	s_cmp_eq_u64 s[8:9], 0
	s_mov_b64 s[20:21], 0
	s_cbranch_scc1 .LBB15_2
; %bb.1:
	s_mul_i32 s6, s13, s22
	s_mul_hi_u32 s7, s12, s22
	s_add_i32 s7, s7, s6
	s_mul_i32 s6, s12, s22
	s_lshl_b64 s[6:7], s[6:7], 3
	s_add_u32 s8, s8, s6
	s_addc_u32 s9, s9, s7
	s_lshl_b64 s[6:7], s[10:11], 3
	s_add_u32 s20, s8, s6
	s_addc_u32 s21, s9, s7
.LBB15_2:
	s_load_dwordx2 s[10:11], s[2:3], 0x0
	s_add_u32 s6, s0, -1
	v_mov_b32_e32 v1, 0
	s_addc_u32 s7, s1, -1
	v_cmp_gt_i64_e64 s[0:1], s[6:7], v[0:1]
	v_mov_b32_e32 v2, 0
	v_mov_b32_e32 v4, 0
	v_mov_b32_e32 v3, 0
	v_mov_b32_e32 v5, 0
	s_and_saveexec_b64 s[8:9], s[0:1]
	s_cbranch_execz .LBB15_6
; %bb.3:
	v_mad_u64_u32 v[2:3], s[2:3], s18, v0, 0
	s_lshl_b64 s[2:3], s[16:17], 4
	s_waitcnt lgkmcnt(0)
	s_add_u32 s2, s14, s2
	v_mad_u64_u32 v[3:4], s[12:13], s19, v0, v[3:4]
	s_addc_u32 s3, s15, s3
	v_mov_b32_e32 v4, s3
	v_lshlrev_b64 v[2:3], 4, v[2:3]
	s_lshl_b64 s[12:13], s[18:19], 10
	v_add_co_u32_e32 v6, vcc, s2, v2
	v_addc_co_u32_e32 v7, vcc, v4, v3, vcc
	v_mov_b32_e32 v2, 0
	v_mov_b32_e32 v4, 0
	;; [unrolled: 1-line block ×4, first 2 shown]
	s_mov_b64 s[26:27], 0
	v_mov_b32_e32 v10, s13
	v_mov_b32_e32 v5, 0
	;; [unrolled: 1-line block ×3, first 2 shown]
.LBB15_4:                               ; =>This Inner Loop Header: Depth=1
	flat_load_dwordx4 v[11:14], v[6:7]
	v_add_co_u32_e32 v8, vcc, 64, v8
	v_addc_co_u32_e32 v9, vcc, 0, v9, vcc
	v_cmp_le_i64_e64 s[2:3], s[6:7], v[8:9]
	v_add_co_u32_e32 v6, vcc, s12, v6
	s_or_b64 s[26:27], s[2:3], s[26:27]
	v_addc_co_u32_e32 v7, vcc, v7, v10, vcc
	s_waitcnt vmcnt(0) lgkmcnt(0)
	v_mul_f64 v[15:16], v[13:14], v[13:14]
	v_mul_f64 v[17:18], v[11:12], v[13:14]
	v_fma_f64 v[15:16], v[11:12], v[11:12], v[15:16]
	v_fma_f64 v[11:12], v[11:12], v[13:14], -v[17:18]
	v_add_f64 v[4:5], v[4:5], v[15:16]
	v_add_f64 v[2:3], v[2:3], v[11:12]
	s_andn2_b64 exec, exec, s[26:27]
	s_cbranch_execnz .LBB15_4
; %bb.5:
	s_or_b64 exec, exec, s[26:27]
.LBB15_6:
	s_or_b64 exec, exec, s[8:9]
	v_mbcnt_lo_u32_b32 v6, -1, 0
	v_mbcnt_hi_u32_b32 v10, -1, v6
	v_and_b32_e32 v11, 63, v10
	v_cmp_ne_u32_e32 vcc, 63, v11
	v_addc_co_u32_e32 v6, vcc, 0, v10, vcc
	v_lshlrev_b32_e32 v9, 2, v6
	ds_bpermute_b32 v6, v9, v4
	ds_bpermute_b32 v7, v9, v5
	;; [unrolled: 1-line block ×4, first 2 shown]
	v_cmp_gt_u32_e32 vcc, 62, v11
	s_waitcnt lgkmcnt(0)
	v_add_f64 v[4:5], v[4:5], v[6:7]
	v_cndmask_b32_e64 v6, 0, 2, vcc
	v_add_f64 v[2:3], v[2:3], v[8:9]
	v_add_lshl_u32 v9, v6, v10, 2
	v_cmp_gt_u32_e32 vcc, 60, v11
	ds_bpermute_b32 v6, v9, v4
	ds_bpermute_b32 v7, v9, v5
	ds_bpermute_b32 v8, v9, v2
	ds_bpermute_b32 v9, v9, v3
	s_waitcnt lgkmcnt(2)
	v_add_f64 v[4:5], v[4:5], v[6:7]
	v_cndmask_b32_e64 v6, 0, 4, vcc
	s_waitcnt lgkmcnt(0)
	v_add_f64 v[2:3], v[2:3], v[8:9]
	v_add_lshl_u32 v9, v6, v10, 2
	v_cmp_gt_u32_e32 vcc, 56, v11
	ds_bpermute_b32 v6, v9, v4
	ds_bpermute_b32 v7, v9, v5
	ds_bpermute_b32 v8, v9, v2
	ds_bpermute_b32 v9, v9, v3
	s_waitcnt lgkmcnt(2)
	v_add_f64 v[4:5], v[4:5], v[6:7]
	v_cndmask_b32_e64 v6, 0, 8, vcc
	s_waitcnt lgkmcnt(0)
	;; [unrolled: 11-line block ×3, first 2 shown]
	v_add_f64 v[2:3], v[2:3], v[8:9]
	v_add_lshl_u32 v9, v6, v10, 2
	v_cmp_eq_u32_e32 vcc, 0, v0
	ds_bpermute_b32 v6, v9, v4
	ds_bpermute_b32 v7, v9, v5
	;; [unrolled: 1-line block ×4, first 2 shown]
	s_waitcnt lgkmcnt(2)
	v_add_f64 v[4:5], v[4:5], v[6:7]
	s_waitcnt lgkmcnt(0)
	v_add_f64 v[6:7], v[2:3], v[8:9]
	v_mov_b32_e32 v2, 0x80
	v_lshl_or_b32 v9, v10, 2, v2
	ds_bpermute_b32 v2, v9, v4
	ds_bpermute_b32 v3, v9, v5
	;; [unrolled: 1-line block ×4, first 2 shown]
	s_waitcnt lgkmcnt(2)
	v_add_f64 v[2:3], v[4:5], v[2:3]
	s_waitcnt lgkmcnt(0)
	v_add_f64 v[4:5], v[6:7], v[8:9]
	s_and_saveexec_b64 s[2:3], vcc
; %bb.7:
	v_lshrrev_b32_e32 v6, 2, v0
	ds_write_b128 v6, v[2:5]
; %bb.8:
	s_or_b64 exec, exec, s[2:3]
	v_cmp_eq_u32_e32 vcc, 0, v0
	s_waitcnt lgkmcnt(0)
	; wave barrier
	s_and_saveexec_b64 s[2:3], vcc
; %bb.9:
	v_mov_b32_e32 v6, 0
	ds_write_b128 v6, v[2:5]
; %bb.10:
	s_or_b64 exec, exec, s[2:3]
	s_waitcnt lgkmcnt(0)
	; wave barrier
	s_and_saveexec_b64 s[8:9], vcc
	s_cbranch_execz .LBB15_18
; %bb.11:
	s_lshl_b64 s[2:3], s[24:25], 4
	s_add_u32 s10, s10, s2
	s_addc_u32 s11, s11, s3
	v_mov_b32_e32 v2, s10
	v_mov_b32_e32 v3, s11
	flat_load_dwordx2 v[5:6], v[2:3] offset:8
	v_mov_b32_e32 v4, 0
	ds_read_b64 v[9:10], v4
	s_load_dwordx4 s[24:27], s[4:5], 0x58
	s_waitcnt lgkmcnt(0)
	v_max_f64 v[2:3], v[9:10], v[9:10]
	s_mul_i32 s2, s27, s22
	s_mul_hi_u32 s3, s26, s22
	s_add_i32 s3, s3, s2
	s_mul_i32 s2, s26, s22
	s_lshl_b64 s[2:3], s[2:3], 4
	s_add_u32 s4, s24, s2
	s_addc_u32 s5, s25, s3
	s_cmp_eq_u64 s[20:21], 0
	s_cselect_b64 s[22:23], -1, 0
	s_cmp_lg_u64 s[20:21], 0
	s_mov_b64 s[2:3], 0
	s_cselect_b64 s[12:13], -1, 0
	s_mov_b64 s[24:25], 0
	s_waitcnt vmcnt(0)
	v_mul_f64 v[7:8], v[5:6], v[5:6]
	v_max_f64 v[2:3], v[2:3], v[7:8]
	v_cmp_nlt_f64_e32 vcc, 0, v[2:3]
                                        ; implicit-def: $vgpr2_vgpr3
	s_and_saveexec_b64 s[26:27], vcc
	s_xor_b64 s[26:27], exec, s[26:27]
	s_cbranch_execz .LBB15_14
; %bb.12:
	v_mov_b32_e32 v5, 0x3ff00000
	v_mov_b32_e32 v6, v4
	;; [unrolled: 1-line block ×3, first 2 shown]
	ds_write_b128 v4, v[4:7]
	v_mov_b32_e32 v5, v4
	s_and_b64 vcc, exec, s[12:13]
	global_store_dwordx4 v4, v[4:7], s[4:5]
	s_cbranch_vccz .LBB15_22
; %bb.13:
	v_mov_b32_e32 v2, s10
	v_mov_b32_e32 v3, s11
	flat_load_dwordx2 v[2:3], v[2:3]
	s_mov_b64 s[24:25], -1
	s_and_b64 s[24:25], s[24:25], exec
                                        ; implicit-def: $vgpr7_vgpr8
                                        ; implicit-def: $vgpr9_vgpr10
                                        ; implicit-def: $vgpr5_vgpr6
	s_andn2_saveexec_b64 s[26:27], s[26:27]
	s_cbranch_execz .LBB15_23
	s_branch .LBB15_15
.LBB15_14:
	s_andn2_saveexec_b64 s[26:27], s[26:27]
	s_cbranch_execz .LBB15_23
.LBB15_15:
	s_waitcnt vmcnt(0) lgkmcnt(0)
	v_mov_b32_e32 v2, s10
	v_mov_b32_e32 v3, s11
	flat_load_dwordx2 v[11:12], v[2:3]
	s_mov_b32 s2, 0
	s_brev_b32 s3, 8
	v_mov_b32_e32 v4, 0x100
	s_and_b64 s[12:13], s[12:13], exec
	s_waitcnt vmcnt(0) lgkmcnt(0)
	v_fma_f64 v[2:3], v[11:12], v[11:12], v[7:8]
	v_add_f64 v[2:3], v[9:10], v[2:3]
	v_cmp_gt_f64_e32 vcc, s[2:3], v[2:3]
	v_cndmask_b32_e32 v4, 0, v4, vcc
	v_ldexp_f64 v[2:3], v[2:3], v4
	v_mov_b32_e32 v4, 0xffffff80
	v_cndmask_b32_e32 v4, 0, v4, vcc
	v_rsq_f64_e32 v[9:10], v[2:3]
	v_mul_f64 v[13:14], v[2:3], v[9:10]
	v_mul_f64 v[9:10], v[9:10], 0.5
	v_fma_f64 v[15:16], -v[9:10], v[13:14], 0.5
	v_fma_f64 v[13:14], v[13:14], v[15:16], v[13:14]
	v_fma_f64 v[9:10], v[9:10], v[15:16], v[9:10]
	v_fma_f64 v[15:16], -v[13:14], v[13:14], v[2:3]
	v_fma_f64 v[13:14], v[15:16], v[9:10], v[13:14]
	v_fma_f64 v[15:16], -v[13:14], v[13:14], v[2:3]
	v_fma_f64 v[9:10], v[15:16], v[9:10], v[13:14]
	v_mov_b32_e32 v13, 0x260
	v_cmp_class_f64_e32 vcc, v[2:3], v13
	v_ldexp_f64 v[9:10], v[9:10], v4
	v_cndmask_b32_e32 v3, v10, v3, vcc
	v_cndmask_b32_e32 v2, v9, v2, vcc
	v_cmp_le_f64_e32 vcc, 0, v[11:12]
	v_xor_b32_e32 v4, 0x80000000, v3
	v_cndmask_b32_e32 v3, v3, v4, vcc
	v_add_f64 v[9:10], v[11:12], -v[2:3]
	v_add_f64 v[11:12], v[2:3], -v[11:12]
	v_mov_b32_e32 v4, 0
	v_fma_f64 v[13:14], v[9:10], v[9:10], v[7:8]
	v_div_scale_f64 v[7:8], s[2:3], v[13:14], v[13:14], v[9:10]
	v_div_scale_f64 v[15:16], s[2:3], v[13:14], v[13:14], -v[5:6]
	v_rcp_f64_e32 v[17:18], v[7:8]
	v_rcp_f64_e32 v[19:20], v[15:16]
	v_fma_f64 v[21:22], -v[7:8], v[17:18], 1.0
	v_fma_f64 v[23:24], -v[15:16], v[19:20], 1.0
	v_fma_f64 v[17:18], v[17:18], v[21:22], v[17:18]
	v_fma_f64 v[19:20], v[19:20], v[23:24], v[19:20]
	v_div_scale_f64 v[23:24], vcc, v[9:10], v[13:14], v[9:10]
	v_fma_f64 v[21:22], -v[7:8], v[17:18], 1.0
	v_fma_f64 v[17:18], v[17:18], v[21:22], v[17:18]
	v_fma_f64 v[21:22], -v[15:16], v[19:20], 1.0
	v_fma_f64 v[19:20], v[19:20], v[21:22], v[19:20]
	v_mul_f64 v[21:22], v[23:24], v[17:18]
	v_fma_f64 v[7:8], -v[7:8], v[21:22], v[23:24]
	v_div_scale_f64 v[23:24], s[2:3], -v[5:6], v[13:14], -v[5:6]
	v_div_fmas_f64 v[7:8], v[7:8], v[17:18], v[21:22]
	v_div_scale_f64 v[17:18], s[28:29], v[2:3], v[2:3], v[11:12]
	s_mov_b64 vcc, s[2:3]
	v_mul_f64 v[21:22], v[23:24], v[19:20]
	v_div_fixup_f64 v[7:8], v[7:8], v[13:14], v[9:10]
	v_fma_f64 v[15:16], -v[15:16], v[21:22], v[23:24]
	v_rcp_f64_e32 v[23:24], v[17:18]
	v_div_fmas_f64 v[15:16], v[15:16], v[19:20], v[21:22]
	v_div_scale_f64 v[19:20], vcc, v[11:12], v[2:3], v[11:12]
	v_fma_f64 v[25:26], -v[17:18], v[23:24], 1.0
	v_div_fixup_f64 v[9:10], v[15:16], v[13:14], -v[5:6]
	v_fma_f64 v[23:24], v[23:24], v[25:26], v[23:24]
	ds_write_b128 v4, v[7:10]
	v_fma_f64 v[21:22], -v[17:18], v[23:24], 1.0
	v_fma_f64 v[21:22], v[23:24], v[21:22], v[23:24]
	v_mul_f64 v[23:24], v[19:20], v[21:22]
	v_fma_f64 v[17:18], -v[17:18], v[23:24], v[19:20]
	v_div_scale_f64 v[19:20], s[2:3], v[2:3], v[2:3], -v[5:6]
	s_and_b64 s[2:3], s[22:23], exec
	s_andn2_b64 s[22:23], s[24:25], exec
	s_or_b64 s[24:25], s[22:23], s[12:13]
	v_div_fmas_f64 v[17:18], v[17:18], v[21:22], v[23:24]
	v_rcp_f64_e32 v[21:22], v[19:20]
	v_div_fixup_f64 v[11:12], v[17:18], v[2:3], v[11:12]
	v_fma_f64 v[23:24], -v[19:20], v[21:22], 1.0
	v_fma_f64 v[21:22], v[21:22], v[23:24], v[21:22]
	v_fma_f64 v[23:24], -v[19:20], v[21:22], 1.0
	v_fma_f64 v[21:22], v[21:22], v[23:24], v[21:22]
	v_div_scale_f64 v[23:24], vcc, -v[5:6], v[2:3], -v[5:6]
	v_mul_f64 v[25:26], v[23:24], v[21:22]
	v_fma_f64 v[19:20], -v[19:20], v[25:26], v[23:24]
	s_nop 1
	v_div_fmas_f64 v[19:20], v[19:20], v[21:22], v[25:26]
	v_div_fixup_f64 v[13:14], v[19:20], v[2:3], -v[5:6]
	global_store_dwordx4 v4, v[11:14], s[4:5]
	s_or_b64 exec, exec, s[26:27]
	s_and_saveexec_b64 s[4:5], s[24:25]
	s_cbranch_execnz .LBB15_24
.LBB15_16:
	s_or_b64 exec, exec, s[4:5]
	s_and_b64 exec, exec, s[2:3]
	s_cbranch_execz .LBB15_18
.LBB15_17:
	v_mov_b32_e32 v4, 0
	v_mov_b32_e32 v6, s10
	;; [unrolled: 1-line block ×4, first 2 shown]
	s_waitcnt vmcnt(0) lgkmcnt(0)
	flat_store_dwordx4 v[6:7], v[2:5]
.LBB15_18:
	s_or_b64 exec, exec, s[8:9]
	s_waitcnt lgkmcnt(0)
	; wave barrier
	s_and_saveexec_b64 s[2:3], s[0:1]
	s_cbranch_execz .LBB15_21
; %bb.19:
	v_mad_u64_u32 v[6:7], s[0:1], s18, v0, 0
	s_waitcnt vmcnt(0)
	v_mov_b32_e32 v3, 0
	s_mov_b64 s[2:3], 0
	v_mov_b32_e32 v2, v7
	v_mad_u64_u32 v[7:8], s[0:1], s19, v0, v[2:3]
	s_lshl_b64 s[0:1], s[16:17], 4
	ds_read_b128 v[2:5], v3
	s_add_u32 s0, s14, s0
	v_lshlrev_b64 v[6:7], 4, v[6:7]
	s_addc_u32 s1, s15, s1
	v_mov_b32_e32 v8, s1
	v_add_co_u32_e32 v6, vcc, s0, v6
	s_lshl_b64 s[0:1], s[18:19], 10
	v_addc_co_u32_e32 v7, vcc, v8, v7, vcc
	v_mov_b32_e32 v8, s1
.LBB15_20:                              ; =>This Inner Loop Header: Depth=1
	flat_load_dwordx4 v[9:12], v[6:7]
	v_add_co_u32_e32 v0, vcc, 64, v0
	v_addc_co_u32_e32 v1, vcc, 0, v1, vcc
	v_cmp_le_i64_e32 vcc, s[6:7], v[0:1]
	s_or_b64 s[2:3], vcc, s[2:3]
	s_waitcnt vmcnt(0) lgkmcnt(0)
	v_mul_f64 v[13:14], v[4:5], v[11:12]
	v_mul_f64 v[15:16], v[2:3], v[11:12]
	v_fma_f64 v[11:12], v[2:3], v[9:10], -v[13:14]
	v_fma_f64 v[13:14], v[4:5], v[9:10], v[15:16]
	flat_store_dwordx4 v[6:7], v[11:14]
	v_add_co_u32_e32 v6, vcc, s0, v6
	v_addc_co_u32_e32 v7, vcc, v7, v8, vcc
	s_andn2_b64 exec, exec, s[2:3]
	s_cbranch_execnz .LBB15_20
.LBB15_21:
	s_endpgm
.LBB15_22:
                                        ; implicit-def: $vgpr2_vgpr3
	s_and_b64 s[24:25], s[24:25], exec
                                        ; implicit-def: $vgpr7_vgpr8
                                        ; implicit-def: $vgpr9_vgpr10
                                        ; implicit-def: $vgpr5_vgpr6
	s_andn2_saveexec_b64 s[26:27], s[26:27]
	s_cbranch_execnz .LBB15_15
.LBB15_23:
	s_or_b64 exec, exec, s[26:27]
	s_and_saveexec_b64 s[4:5], s[24:25]
	s_cbranch_execz .LBB15_16
.LBB15_24:
	v_mov_b32_e32 v4, 0
	s_waitcnt vmcnt(0) lgkmcnt(0)
	global_store_dwordx2 v4, v[2:3], s[20:21]
	v_mov_b32_e32 v2, 0
	v_mov_b32_e32 v3, 0x3ff00000
	s_or_b64 s[2:3], s[2:3], exec
	s_or_b64 exec, exec, s[4:5]
	s_and_b64 exec, exec, s[2:3]
	s_cbranch_execnz .LBB15_17
	s_branch .LBB15_18
	.section	.rodata,"a",@progbits
	.p2align	6, 0x0
	.amdhsa_kernel _ZN9rocsolver6v33100L18larfg_kernel_smallILi64E19rocblas_complex_numIdEldPKPS3_EEvT1_T3_llPT2_llS8_lS7_lPT0_l
		.amdhsa_group_segment_fixed_size 16
		.amdhsa_private_segment_fixed_size 0
		.amdhsa_kernarg_size 104
		.amdhsa_user_sgpr_count 6
		.amdhsa_user_sgpr_private_segment_buffer 1
		.amdhsa_user_sgpr_dispatch_ptr 0
		.amdhsa_user_sgpr_queue_ptr 0
		.amdhsa_user_sgpr_kernarg_segment_ptr 1
		.amdhsa_user_sgpr_dispatch_id 0
		.amdhsa_user_sgpr_flat_scratch_init 0
		.amdhsa_user_sgpr_private_segment_size 0
		.amdhsa_uses_dynamic_stack 0
		.amdhsa_system_sgpr_private_segment_wavefront_offset 0
		.amdhsa_system_sgpr_workgroup_id_x 1
		.amdhsa_system_sgpr_workgroup_id_y 0
		.amdhsa_system_sgpr_workgroup_id_z 1
		.amdhsa_system_sgpr_workgroup_info 0
		.amdhsa_system_vgpr_workitem_id 0
		.amdhsa_next_free_vgpr 27
		.amdhsa_next_free_sgpr 30
		.amdhsa_reserve_vcc 1
		.amdhsa_reserve_flat_scratch 0
		.amdhsa_float_round_mode_32 0
		.amdhsa_float_round_mode_16_64 0
		.amdhsa_float_denorm_mode_32 3
		.amdhsa_float_denorm_mode_16_64 3
		.amdhsa_dx10_clamp 1
		.amdhsa_ieee_mode 1
		.amdhsa_fp16_overflow 0
		.amdhsa_exception_fp_ieee_invalid_op 0
		.amdhsa_exception_fp_denorm_src 0
		.amdhsa_exception_fp_ieee_div_zero 0
		.amdhsa_exception_fp_ieee_overflow 0
		.amdhsa_exception_fp_ieee_underflow 0
		.amdhsa_exception_fp_ieee_inexact 0
		.amdhsa_exception_int_div_zero 0
	.end_amdhsa_kernel
	.section	.text._ZN9rocsolver6v33100L18larfg_kernel_smallILi64E19rocblas_complex_numIdEldPKPS3_EEvT1_T3_llPT2_llS8_lS7_lPT0_l,"axG",@progbits,_ZN9rocsolver6v33100L18larfg_kernel_smallILi64E19rocblas_complex_numIdEldPKPS3_EEvT1_T3_llPT2_llS8_lS7_lPT0_l,comdat
.Lfunc_end15:
	.size	_ZN9rocsolver6v33100L18larfg_kernel_smallILi64E19rocblas_complex_numIdEldPKPS3_EEvT1_T3_llPT2_llS8_lS7_lPT0_l, .Lfunc_end15-_ZN9rocsolver6v33100L18larfg_kernel_smallILi64E19rocblas_complex_numIdEldPKPS3_EEvT1_T3_llPT2_llS8_lS7_lPT0_l
                                        ; -- End function
	.set _ZN9rocsolver6v33100L18larfg_kernel_smallILi64E19rocblas_complex_numIdEldPKPS3_EEvT1_T3_llPT2_llS8_lS7_lPT0_l.num_vgpr, 27
	.set _ZN9rocsolver6v33100L18larfg_kernel_smallILi64E19rocblas_complex_numIdEldPKPS3_EEvT1_T3_llPT2_llS8_lS7_lPT0_l.num_agpr, 0
	.set _ZN9rocsolver6v33100L18larfg_kernel_smallILi64E19rocblas_complex_numIdEldPKPS3_EEvT1_T3_llPT2_llS8_lS7_lPT0_l.numbered_sgpr, 30
	.set _ZN9rocsolver6v33100L18larfg_kernel_smallILi64E19rocblas_complex_numIdEldPKPS3_EEvT1_T3_llPT2_llS8_lS7_lPT0_l.num_named_barrier, 0
	.set _ZN9rocsolver6v33100L18larfg_kernel_smallILi64E19rocblas_complex_numIdEldPKPS3_EEvT1_T3_llPT2_llS8_lS7_lPT0_l.private_seg_size, 0
	.set _ZN9rocsolver6v33100L18larfg_kernel_smallILi64E19rocblas_complex_numIdEldPKPS3_EEvT1_T3_llPT2_llS8_lS7_lPT0_l.uses_vcc, 1
	.set _ZN9rocsolver6v33100L18larfg_kernel_smallILi64E19rocblas_complex_numIdEldPKPS3_EEvT1_T3_llPT2_llS8_lS7_lPT0_l.uses_flat_scratch, 0
	.set _ZN9rocsolver6v33100L18larfg_kernel_smallILi64E19rocblas_complex_numIdEldPKPS3_EEvT1_T3_llPT2_llS8_lS7_lPT0_l.has_dyn_sized_stack, 0
	.set _ZN9rocsolver6v33100L18larfg_kernel_smallILi64E19rocblas_complex_numIdEldPKPS3_EEvT1_T3_llPT2_llS8_lS7_lPT0_l.has_recursion, 0
	.set _ZN9rocsolver6v33100L18larfg_kernel_smallILi64E19rocblas_complex_numIdEldPKPS3_EEvT1_T3_llPT2_llS8_lS7_lPT0_l.has_indirect_call, 0
	.section	.AMDGPU.csdata,"",@progbits
; Kernel info:
; codeLenInByte = 2044
; TotalNumSgprs: 34
; NumVgprs: 27
; ScratchSize: 0
; MemoryBound: 0
; FloatMode: 240
; IeeeMode: 1
; LDSByteSize: 16 bytes/workgroup (compile time only)
; SGPRBlocks: 4
; VGPRBlocks: 6
; NumSGPRsForWavesPerEU: 34
; NumVGPRsForWavesPerEU: 27
; Occupancy: 9
; WaveLimiterHint : 1
; COMPUTE_PGM_RSRC2:SCRATCH_EN: 0
; COMPUTE_PGM_RSRC2:USER_SGPR: 6
; COMPUTE_PGM_RSRC2:TRAP_HANDLER: 0
; COMPUTE_PGM_RSRC2:TGID_X_EN: 1
; COMPUTE_PGM_RSRC2:TGID_Y_EN: 0
; COMPUTE_PGM_RSRC2:TGID_Z_EN: 1
; COMPUTE_PGM_RSRC2:TIDIG_COMP_CNT: 0
	.section	.text._ZN9rocsolver6v33100L18larfg_kernel_smallILi128E19rocblas_complex_numIdEldPKPS3_EEvT1_T3_llPT2_llS8_lS7_lPT0_l,"axG",@progbits,_ZN9rocsolver6v33100L18larfg_kernel_smallILi128E19rocblas_complex_numIdEldPKPS3_EEvT1_T3_llPT2_llS8_lS7_lPT0_l,comdat
	.globl	_ZN9rocsolver6v33100L18larfg_kernel_smallILi128E19rocblas_complex_numIdEldPKPS3_EEvT1_T3_llPT2_llS8_lS7_lPT0_l ; -- Begin function _ZN9rocsolver6v33100L18larfg_kernel_smallILi128E19rocblas_complex_numIdEldPKPS3_EEvT1_T3_llPT2_llS8_lS7_lPT0_l
	.p2align	8
	.type	_ZN9rocsolver6v33100L18larfg_kernel_smallILi128E19rocblas_complex_numIdEldPKPS3_EEvT1_T3_llPT2_llS8_lS7_lPT0_l,@function
_ZN9rocsolver6v33100L18larfg_kernel_smallILi128E19rocblas_complex_numIdEldPKPS3_EEvT1_T3_llPT2_llS8_lS7_lPT0_l: ; @_ZN9rocsolver6v33100L18larfg_kernel_smallILi128E19rocblas_complex_numIdEldPKPS3_EEvT1_T3_llPT2_llS8_lS7_lPT0_l
; %bb.0:
	s_mov_b32 s22, s7
	s_load_dwordx4 s[0:3], s[4:5], 0x0
	s_load_dwordx2 s[24:25], s[4:5], 0x10
	s_load_dwordx8 s[8:15], s[4:5], 0x20
	s_load_dwordx4 s[16:19], s[4:5], 0x40
	s_mov_b32 s23, 0
	s_lshl_b64 s[6:7], s[22:23], 3
	s_waitcnt lgkmcnt(0)
	s_add_u32 s2, s2, s6
	s_addc_u32 s3, s3, s7
	s_add_u32 s6, s14, s6
	s_addc_u32 s7, s15, s7
	s_load_dwordx2 s[14:15], s[6:7], 0x0
	s_cmp_eq_u64 s[8:9], 0
	s_mov_b64 s[20:21], 0
	s_cbranch_scc1 .LBB16_2
; %bb.1:
	s_mul_i32 s6, s13, s22
	s_mul_hi_u32 s7, s12, s22
	s_add_i32 s7, s7, s6
	s_mul_i32 s6, s12, s22
	s_lshl_b64 s[6:7], s[6:7], 3
	s_add_u32 s8, s8, s6
	s_addc_u32 s9, s9, s7
	s_lshl_b64 s[6:7], s[10:11], 3
	s_add_u32 s20, s8, s6
	s_addc_u32 s21, s9, s7
.LBB16_2:
	s_load_dwordx2 s[10:11], s[2:3], 0x0
	s_add_u32 s6, s0, -1
	v_mov_b32_e32 v1, 0
	s_addc_u32 s7, s1, -1
	v_cmp_gt_i64_e64 s[0:1], s[6:7], v[0:1]
	v_mov_b32_e32 v2, 0
	v_mov_b32_e32 v4, 0
	;; [unrolled: 1-line block ×4, first 2 shown]
	s_and_saveexec_b64 s[8:9], s[0:1]
	s_cbranch_execz .LBB16_6
; %bb.3:
	v_mad_u64_u32 v[2:3], s[2:3], s18, v0, 0
	s_lshl_b64 s[2:3], s[16:17], 4
	s_waitcnt lgkmcnt(0)
	s_add_u32 s2, s14, s2
	v_mad_u64_u32 v[3:4], s[12:13], s19, v0, v[3:4]
	s_addc_u32 s3, s15, s3
	v_mov_b32_e32 v4, s3
	v_lshlrev_b64 v[2:3], 4, v[2:3]
	s_lshl_b64 s[12:13], s[18:19], 11
	v_add_co_u32_e32 v6, vcc, s2, v2
	v_addc_co_u32_e32 v7, vcc, v4, v3, vcc
	v_mov_b32_e32 v2, 0
	v_mov_b32_e32 v4, 0
	;; [unrolled: 1-line block ×4, first 2 shown]
	s_mov_b64 s[26:27], 0
	v_mov_b32_e32 v10, s13
	v_mov_b32_e32 v5, 0
	;; [unrolled: 1-line block ×3, first 2 shown]
.LBB16_4:                               ; =>This Inner Loop Header: Depth=1
	flat_load_dwordx4 v[11:14], v[6:7]
	v_add_co_u32_e32 v8, vcc, 0x80, v8
	v_addc_co_u32_e32 v9, vcc, 0, v9, vcc
	v_cmp_le_i64_e32 vcc, s[6:7], v[8:9]
	v_add_co_u32_e64 v6, s[2:3], s12, v6
	s_or_b64 s[26:27], vcc, s[26:27]
	v_addc_co_u32_e64 v7, vcc, v7, v10, s[2:3]
	s_waitcnt vmcnt(0) lgkmcnt(0)
	v_mul_f64 v[15:16], v[13:14], v[13:14]
	v_mul_f64 v[17:18], v[11:12], v[13:14]
	v_fma_f64 v[15:16], v[11:12], v[11:12], v[15:16]
	v_fma_f64 v[11:12], v[11:12], v[13:14], -v[17:18]
	v_add_f64 v[4:5], v[4:5], v[15:16]
	v_add_f64 v[2:3], v[2:3], v[11:12]
	s_andn2_b64 exec, exec, s[26:27]
	s_cbranch_execnz .LBB16_4
; %bb.5:
	s_or_b64 exec, exec, s[26:27]
.LBB16_6:
	s_or_b64 exec, exec, s[8:9]
	v_mbcnt_lo_u32_b32 v6, -1, 0
	v_mbcnt_hi_u32_b32 v10, -1, v6
	v_and_b32_e32 v11, 63, v10
	v_cmp_ne_u32_e32 vcc, 63, v11
	v_addc_co_u32_e32 v6, vcc, 0, v10, vcc
	v_lshlrev_b32_e32 v9, 2, v6
	ds_bpermute_b32 v6, v9, v4
	ds_bpermute_b32 v7, v9, v5
	ds_bpermute_b32 v8, v9, v2
	ds_bpermute_b32 v9, v9, v3
	v_cmp_gt_u32_e32 vcc, 62, v11
	s_waitcnt lgkmcnt(0)
	v_add_f64 v[4:5], v[4:5], v[6:7]
	v_cndmask_b32_e64 v6, 0, 2, vcc
	v_add_f64 v[2:3], v[2:3], v[8:9]
	v_add_lshl_u32 v9, v6, v10, 2
	v_cmp_gt_u32_e32 vcc, 60, v11
	ds_bpermute_b32 v6, v9, v4
	ds_bpermute_b32 v7, v9, v5
	ds_bpermute_b32 v8, v9, v2
	ds_bpermute_b32 v9, v9, v3
	s_waitcnt lgkmcnt(2)
	v_add_f64 v[4:5], v[4:5], v[6:7]
	v_cndmask_b32_e64 v6, 0, 4, vcc
	s_waitcnt lgkmcnt(0)
	v_add_f64 v[2:3], v[2:3], v[8:9]
	v_add_lshl_u32 v9, v6, v10, 2
	v_cmp_gt_u32_e32 vcc, 56, v11
	ds_bpermute_b32 v6, v9, v4
	ds_bpermute_b32 v7, v9, v5
	ds_bpermute_b32 v8, v9, v2
	ds_bpermute_b32 v9, v9, v3
	s_waitcnt lgkmcnt(2)
	v_add_f64 v[4:5], v[4:5], v[6:7]
	v_cndmask_b32_e64 v6, 0, 8, vcc
	s_waitcnt lgkmcnt(0)
	v_add_f64 v[2:3], v[2:3], v[8:9]
	v_add_lshl_u32 v9, v6, v10, 2
	v_cmp_gt_u32_e32 vcc, 48, v11
	ds_bpermute_b32 v6, v9, v4
	ds_bpermute_b32 v7, v9, v5
	ds_bpermute_b32 v8, v9, v2
	ds_bpermute_b32 v9, v9, v3
	s_waitcnt lgkmcnt(2)
	v_add_f64 v[4:5], v[4:5], v[6:7]
	v_cndmask_b32_e64 v6, 0, 16, vcc
	s_waitcnt lgkmcnt(0)
	v_add_f64 v[2:3], v[2:3], v[8:9]
	v_add_lshl_u32 v9, v6, v10, 2
	ds_bpermute_b32 v6, v9, v4
	ds_bpermute_b32 v7, v9, v5
	;; [unrolled: 1-line block ×4, first 2 shown]
	s_waitcnt lgkmcnt(2)
	v_add_f64 v[4:5], v[4:5], v[6:7]
	s_waitcnt lgkmcnt(0)
	v_add_f64 v[6:7], v[2:3], v[8:9]
	v_mov_b32_e32 v2, 0x80
	v_lshl_or_b32 v9, v10, 2, v2
	ds_bpermute_b32 v2, v9, v4
	ds_bpermute_b32 v3, v9, v5
	;; [unrolled: 1-line block ×4, first 2 shown]
	s_waitcnt lgkmcnt(2)
	v_add_f64 v[2:3], v[4:5], v[2:3]
	s_waitcnt lgkmcnt(0)
	v_add_f64 v[4:5], v[6:7], v[8:9]
	v_and_b32_e32 v6, 63, v0
	v_cmp_eq_u32_e32 vcc, 0, v6
	s_and_saveexec_b64 s[2:3], vcc
; %bb.7:
	v_lshrrev_b32_e32 v6, 2, v0
	ds_write_b128 v6, v[2:5]
; %bb.8:
	s_or_b64 exec, exec, s[2:3]
	v_cmp_eq_u32_e32 vcc, 0, v0
	s_waitcnt lgkmcnt(0)
	s_barrier
	s_and_saveexec_b64 s[2:3], vcc
	s_cbranch_execz .LBB16_10
; %bb.9:
	v_mov_b32_e32 v10, 0
	ds_read_b128 v[6:9], v10 offset:16
	s_waitcnt lgkmcnt(0)
	v_add_f64 v[4:5], v[4:5], v[8:9]
	v_add_f64 v[2:3], v[2:3], v[6:7]
	ds_write_b128 v10, v[2:5]
.LBB16_10:
	s_or_b64 exec, exec, s[2:3]
	s_waitcnt lgkmcnt(0)
	s_barrier
	s_and_saveexec_b64 s[8:9], vcc
	s_cbranch_execz .LBB16_18
; %bb.11:
	s_lshl_b64 s[2:3], s[24:25], 4
	s_add_u32 s10, s10, s2
	s_addc_u32 s11, s11, s3
	v_mov_b32_e32 v2, s10
	v_mov_b32_e32 v3, s11
	flat_load_dwordx2 v[5:6], v[2:3] offset:8
	v_mov_b32_e32 v4, 0
	ds_read_b64 v[9:10], v4
	s_load_dwordx4 s[24:27], s[4:5], 0x58
	s_waitcnt lgkmcnt(0)
	v_max_f64 v[2:3], v[9:10], v[9:10]
	s_mul_i32 s2, s27, s22
	s_mul_hi_u32 s3, s26, s22
	s_add_i32 s3, s3, s2
	s_mul_i32 s2, s26, s22
	s_lshl_b64 s[2:3], s[2:3], 4
	s_add_u32 s4, s24, s2
	s_addc_u32 s5, s25, s3
	s_cmp_eq_u64 s[20:21], 0
	s_cselect_b64 s[22:23], -1, 0
	s_cmp_lg_u64 s[20:21], 0
	s_mov_b64 s[2:3], 0
	s_cselect_b64 s[12:13], -1, 0
	s_mov_b64 s[24:25], 0
	s_waitcnt vmcnt(0)
	v_mul_f64 v[7:8], v[5:6], v[5:6]
	v_max_f64 v[2:3], v[2:3], v[7:8]
	v_cmp_nlt_f64_e32 vcc, 0, v[2:3]
                                        ; implicit-def: $vgpr2_vgpr3
	s_and_saveexec_b64 s[26:27], vcc
	s_xor_b64 s[26:27], exec, s[26:27]
	s_cbranch_execz .LBB16_14
; %bb.12:
	v_mov_b32_e32 v5, 0x3ff00000
	v_mov_b32_e32 v6, v4
	;; [unrolled: 1-line block ×3, first 2 shown]
	ds_write_b128 v4, v[4:7]
	v_mov_b32_e32 v5, v4
	s_and_b64 vcc, exec, s[12:13]
	global_store_dwordx4 v4, v[4:7], s[4:5]
	s_cbranch_vccz .LBB16_22
; %bb.13:
	v_mov_b32_e32 v2, s10
	v_mov_b32_e32 v3, s11
	flat_load_dwordx2 v[2:3], v[2:3]
	s_mov_b64 s[24:25], -1
	s_and_b64 s[24:25], s[24:25], exec
                                        ; implicit-def: $vgpr7_vgpr8
                                        ; implicit-def: $vgpr9_vgpr10
                                        ; implicit-def: $vgpr5_vgpr6
	s_andn2_saveexec_b64 s[26:27], s[26:27]
	s_cbranch_execz .LBB16_23
	s_branch .LBB16_15
.LBB16_14:
	s_andn2_saveexec_b64 s[26:27], s[26:27]
	s_cbranch_execz .LBB16_23
.LBB16_15:
	s_waitcnt vmcnt(0) lgkmcnt(0)
	v_mov_b32_e32 v2, s10
	v_mov_b32_e32 v3, s11
	flat_load_dwordx2 v[11:12], v[2:3]
	s_mov_b32 s2, 0
	s_brev_b32 s3, 8
	v_mov_b32_e32 v4, 0x100
	s_and_b64 s[12:13], s[12:13], exec
	s_waitcnt vmcnt(0) lgkmcnt(0)
	v_fma_f64 v[2:3], v[11:12], v[11:12], v[7:8]
	v_add_f64 v[2:3], v[9:10], v[2:3]
	v_cmp_gt_f64_e32 vcc, s[2:3], v[2:3]
	v_cndmask_b32_e32 v4, 0, v4, vcc
	v_ldexp_f64 v[2:3], v[2:3], v4
	v_mov_b32_e32 v4, 0xffffff80
	v_cndmask_b32_e32 v4, 0, v4, vcc
	v_rsq_f64_e32 v[9:10], v[2:3]
	v_mul_f64 v[13:14], v[2:3], v[9:10]
	v_mul_f64 v[9:10], v[9:10], 0.5
	v_fma_f64 v[15:16], -v[9:10], v[13:14], 0.5
	v_fma_f64 v[13:14], v[13:14], v[15:16], v[13:14]
	v_fma_f64 v[9:10], v[9:10], v[15:16], v[9:10]
	v_fma_f64 v[15:16], -v[13:14], v[13:14], v[2:3]
	v_fma_f64 v[13:14], v[15:16], v[9:10], v[13:14]
	v_fma_f64 v[15:16], -v[13:14], v[13:14], v[2:3]
	v_fma_f64 v[9:10], v[15:16], v[9:10], v[13:14]
	v_mov_b32_e32 v13, 0x260
	v_cmp_class_f64_e32 vcc, v[2:3], v13
	v_ldexp_f64 v[9:10], v[9:10], v4
	v_cndmask_b32_e32 v3, v10, v3, vcc
	v_cndmask_b32_e32 v2, v9, v2, vcc
	v_cmp_le_f64_e32 vcc, 0, v[11:12]
	v_xor_b32_e32 v4, 0x80000000, v3
	v_cndmask_b32_e32 v3, v3, v4, vcc
	v_add_f64 v[9:10], v[11:12], -v[2:3]
	v_add_f64 v[11:12], v[2:3], -v[11:12]
	v_mov_b32_e32 v4, 0
	v_fma_f64 v[13:14], v[9:10], v[9:10], v[7:8]
	v_div_scale_f64 v[7:8], s[2:3], v[13:14], v[13:14], v[9:10]
	v_div_scale_f64 v[15:16], s[2:3], v[13:14], v[13:14], -v[5:6]
	v_rcp_f64_e32 v[17:18], v[7:8]
	v_rcp_f64_e32 v[19:20], v[15:16]
	v_fma_f64 v[21:22], -v[7:8], v[17:18], 1.0
	v_fma_f64 v[23:24], -v[15:16], v[19:20], 1.0
	v_fma_f64 v[17:18], v[17:18], v[21:22], v[17:18]
	v_fma_f64 v[19:20], v[19:20], v[23:24], v[19:20]
	v_div_scale_f64 v[23:24], vcc, v[9:10], v[13:14], v[9:10]
	v_fma_f64 v[21:22], -v[7:8], v[17:18], 1.0
	v_fma_f64 v[17:18], v[17:18], v[21:22], v[17:18]
	v_fma_f64 v[21:22], -v[15:16], v[19:20], 1.0
	v_fma_f64 v[19:20], v[19:20], v[21:22], v[19:20]
	v_mul_f64 v[21:22], v[23:24], v[17:18]
	v_fma_f64 v[7:8], -v[7:8], v[21:22], v[23:24]
	v_div_scale_f64 v[23:24], s[2:3], -v[5:6], v[13:14], -v[5:6]
	v_div_fmas_f64 v[7:8], v[7:8], v[17:18], v[21:22]
	v_div_scale_f64 v[17:18], s[28:29], v[2:3], v[2:3], v[11:12]
	s_mov_b64 vcc, s[2:3]
	v_mul_f64 v[21:22], v[23:24], v[19:20]
	v_div_fixup_f64 v[7:8], v[7:8], v[13:14], v[9:10]
	v_fma_f64 v[15:16], -v[15:16], v[21:22], v[23:24]
	v_rcp_f64_e32 v[23:24], v[17:18]
	v_div_fmas_f64 v[15:16], v[15:16], v[19:20], v[21:22]
	v_div_scale_f64 v[19:20], vcc, v[11:12], v[2:3], v[11:12]
	v_fma_f64 v[25:26], -v[17:18], v[23:24], 1.0
	v_div_fixup_f64 v[9:10], v[15:16], v[13:14], -v[5:6]
	v_fma_f64 v[23:24], v[23:24], v[25:26], v[23:24]
	ds_write_b128 v4, v[7:10]
	v_fma_f64 v[21:22], -v[17:18], v[23:24], 1.0
	v_fma_f64 v[21:22], v[23:24], v[21:22], v[23:24]
	v_mul_f64 v[23:24], v[19:20], v[21:22]
	v_fma_f64 v[17:18], -v[17:18], v[23:24], v[19:20]
	v_div_scale_f64 v[19:20], s[2:3], v[2:3], v[2:3], -v[5:6]
	s_and_b64 s[2:3], s[22:23], exec
	s_andn2_b64 s[22:23], s[24:25], exec
	s_or_b64 s[24:25], s[22:23], s[12:13]
	v_div_fmas_f64 v[17:18], v[17:18], v[21:22], v[23:24]
	v_rcp_f64_e32 v[21:22], v[19:20]
	v_div_fixup_f64 v[11:12], v[17:18], v[2:3], v[11:12]
	v_fma_f64 v[23:24], -v[19:20], v[21:22], 1.0
	v_fma_f64 v[21:22], v[21:22], v[23:24], v[21:22]
	v_fma_f64 v[23:24], -v[19:20], v[21:22], 1.0
	v_fma_f64 v[21:22], v[21:22], v[23:24], v[21:22]
	v_div_scale_f64 v[23:24], vcc, -v[5:6], v[2:3], -v[5:6]
	v_mul_f64 v[25:26], v[23:24], v[21:22]
	v_fma_f64 v[19:20], -v[19:20], v[25:26], v[23:24]
	s_nop 1
	v_div_fmas_f64 v[19:20], v[19:20], v[21:22], v[25:26]
	v_div_fixup_f64 v[13:14], v[19:20], v[2:3], -v[5:6]
	global_store_dwordx4 v4, v[11:14], s[4:5]
	s_or_b64 exec, exec, s[26:27]
	s_and_saveexec_b64 s[4:5], s[24:25]
	s_cbranch_execnz .LBB16_24
.LBB16_16:
	s_or_b64 exec, exec, s[4:5]
	s_and_b64 exec, exec, s[2:3]
	s_cbranch_execz .LBB16_18
.LBB16_17:
	v_mov_b32_e32 v4, 0
	v_mov_b32_e32 v6, s10
	;; [unrolled: 1-line block ×4, first 2 shown]
	s_waitcnt vmcnt(0) lgkmcnt(0)
	flat_store_dwordx4 v[6:7], v[2:5]
.LBB16_18:
	s_or_b64 exec, exec, s[8:9]
	s_waitcnt vmcnt(0) lgkmcnt(0)
	s_barrier
	s_and_saveexec_b64 s[2:3], s[0:1]
	s_cbranch_execz .LBB16_21
; %bb.19:
	v_mad_u64_u32 v[6:7], s[0:1], s18, v0, 0
	v_mov_b32_e32 v3, 0
	s_mov_b64 s[2:3], 0
	v_mov_b32_e32 v2, v7
	v_mad_u64_u32 v[7:8], s[0:1], s19, v0, v[2:3]
	s_lshl_b64 s[0:1], s[16:17], 4
	ds_read_b128 v[2:5], v3
	s_add_u32 s0, s14, s0
	v_lshlrev_b64 v[6:7], 4, v[6:7]
	s_addc_u32 s1, s15, s1
	v_mov_b32_e32 v8, s1
	v_add_co_u32_e32 v6, vcc, s0, v6
	s_lshl_b64 s[0:1], s[18:19], 11
	v_addc_co_u32_e32 v7, vcc, v8, v7, vcc
	v_mov_b32_e32 v8, s1
.LBB16_20:                              ; =>This Inner Loop Header: Depth=1
	flat_load_dwordx4 v[9:12], v[6:7]
	v_add_co_u32_e32 v0, vcc, 0x80, v0
	v_addc_co_u32_e32 v1, vcc, 0, v1, vcc
	v_cmp_le_i64_e32 vcc, s[6:7], v[0:1]
	s_or_b64 s[2:3], vcc, s[2:3]
	s_waitcnt vmcnt(0) lgkmcnt(0)
	v_mul_f64 v[13:14], v[4:5], v[11:12]
	v_mul_f64 v[15:16], v[2:3], v[11:12]
	v_fma_f64 v[11:12], v[2:3], v[9:10], -v[13:14]
	v_fma_f64 v[13:14], v[4:5], v[9:10], v[15:16]
	flat_store_dwordx4 v[6:7], v[11:14]
	v_add_co_u32_e32 v6, vcc, s0, v6
	v_addc_co_u32_e32 v7, vcc, v7, v8, vcc
	s_andn2_b64 exec, exec, s[2:3]
	s_cbranch_execnz .LBB16_20
.LBB16_21:
	s_endpgm
.LBB16_22:
                                        ; implicit-def: $vgpr2_vgpr3
	s_and_b64 s[24:25], s[24:25], exec
                                        ; implicit-def: $vgpr7_vgpr8
                                        ; implicit-def: $vgpr9_vgpr10
                                        ; implicit-def: $vgpr5_vgpr6
	s_andn2_saveexec_b64 s[26:27], s[26:27]
	s_cbranch_execnz .LBB16_15
.LBB16_23:
	s_or_b64 exec, exec, s[26:27]
	s_and_saveexec_b64 s[4:5], s[24:25]
	s_cbranch_execz .LBB16_16
.LBB16_24:
	v_mov_b32_e32 v4, 0
	s_waitcnt vmcnt(0) lgkmcnt(0)
	global_store_dwordx2 v4, v[2:3], s[20:21]
	v_mov_b32_e32 v2, 0
	v_mov_b32_e32 v3, 0x3ff00000
	s_or_b64 s[2:3], s[2:3], exec
	s_or_b64 exec, exec, s[4:5]
	s_and_b64 exec, exec, s[2:3]
	s_cbranch_execnz .LBB16_17
	s_branch .LBB16_18
	.section	.rodata,"a",@progbits
	.p2align	6, 0x0
	.amdhsa_kernel _ZN9rocsolver6v33100L18larfg_kernel_smallILi128E19rocblas_complex_numIdEldPKPS3_EEvT1_T3_llPT2_llS8_lS7_lPT0_l
		.amdhsa_group_segment_fixed_size 32
		.amdhsa_private_segment_fixed_size 0
		.amdhsa_kernarg_size 104
		.amdhsa_user_sgpr_count 6
		.amdhsa_user_sgpr_private_segment_buffer 1
		.amdhsa_user_sgpr_dispatch_ptr 0
		.amdhsa_user_sgpr_queue_ptr 0
		.amdhsa_user_sgpr_kernarg_segment_ptr 1
		.amdhsa_user_sgpr_dispatch_id 0
		.amdhsa_user_sgpr_flat_scratch_init 0
		.amdhsa_user_sgpr_private_segment_size 0
		.amdhsa_uses_dynamic_stack 0
		.amdhsa_system_sgpr_private_segment_wavefront_offset 0
		.amdhsa_system_sgpr_workgroup_id_x 1
		.amdhsa_system_sgpr_workgroup_id_y 0
		.amdhsa_system_sgpr_workgroup_id_z 1
		.amdhsa_system_sgpr_workgroup_info 0
		.amdhsa_system_vgpr_workitem_id 0
		.amdhsa_next_free_vgpr 27
		.amdhsa_next_free_sgpr 30
		.amdhsa_reserve_vcc 1
		.amdhsa_reserve_flat_scratch 0
		.amdhsa_float_round_mode_32 0
		.amdhsa_float_round_mode_16_64 0
		.amdhsa_float_denorm_mode_32 3
		.amdhsa_float_denorm_mode_16_64 3
		.amdhsa_dx10_clamp 1
		.amdhsa_ieee_mode 1
		.amdhsa_fp16_overflow 0
		.amdhsa_exception_fp_ieee_invalid_op 0
		.amdhsa_exception_fp_denorm_src 0
		.amdhsa_exception_fp_ieee_div_zero 0
		.amdhsa_exception_fp_ieee_overflow 0
		.amdhsa_exception_fp_ieee_underflow 0
		.amdhsa_exception_fp_ieee_inexact 0
		.amdhsa_exception_int_div_zero 0
	.end_amdhsa_kernel
	.section	.text._ZN9rocsolver6v33100L18larfg_kernel_smallILi128E19rocblas_complex_numIdEldPKPS3_EEvT1_T3_llPT2_llS8_lS7_lPT0_l,"axG",@progbits,_ZN9rocsolver6v33100L18larfg_kernel_smallILi128E19rocblas_complex_numIdEldPKPS3_EEvT1_T3_llPT2_llS8_lS7_lPT0_l,comdat
.Lfunc_end16:
	.size	_ZN9rocsolver6v33100L18larfg_kernel_smallILi128E19rocblas_complex_numIdEldPKPS3_EEvT1_T3_llPT2_llS8_lS7_lPT0_l, .Lfunc_end16-_ZN9rocsolver6v33100L18larfg_kernel_smallILi128E19rocblas_complex_numIdEldPKPS3_EEvT1_T3_llPT2_llS8_lS7_lPT0_l
                                        ; -- End function
	.set _ZN9rocsolver6v33100L18larfg_kernel_smallILi128E19rocblas_complex_numIdEldPKPS3_EEvT1_T3_llPT2_llS8_lS7_lPT0_l.num_vgpr, 27
	.set _ZN9rocsolver6v33100L18larfg_kernel_smallILi128E19rocblas_complex_numIdEldPKPS3_EEvT1_T3_llPT2_llS8_lS7_lPT0_l.num_agpr, 0
	.set _ZN9rocsolver6v33100L18larfg_kernel_smallILi128E19rocblas_complex_numIdEldPKPS3_EEvT1_T3_llPT2_llS8_lS7_lPT0_l.numbered_sgpr, 30
	.set _ZN9rocsolver6v33100L18larfg_kernel_smallILi128E19rocblas_complex_numIdEldPKPS3_EEvT1_T3_llPT2_llS8_lS7_lPT0_l.num_named_barrier, 0
	.set _ZN9rocsolver6v33100L18larfg_kernel_smallILi128E19rocblas_complex_numIdEldPKPS3_EEvT1_T3_llPT2_llS8_lS7_lPT0_l.private_seg_size, 0
	.set _ZN9rocsolver6v33100L18larfg_kernel_smallILi128E19rocblas_complex_numIdEldPKPS3_EEvT1_T3_llPT2_llS8_lS7_lPT0_l.uses_vcc, 1
	.set _ZN9rocsolver6v33100L18larfg_kernel_smallILi128E19rocblas_complex_numIdEldPKPS3_EEvT1_T3_llPT2_llS8_lS7_lPT0_l.uses_flat_scratch, 0
	.set _ZN9rocsolver6v33100L18larfg_kernel_smallILi128E19rocblas_complex_numIdEldPKPS3_EEvT1_T3_llPT2_llS8_lS7_lPT0_l.has_dyn_sized_stack, 0
	.set _ZN9rocsolver6v33100L18larfg_kernel_smallILi128E19rocblas_complex_numIdEldPKPS3_EEvT1_T3_llPT2_llS8_lS7_lPT0_l.has_recursion, 0
	.set _ZN9rocsolver6v33100L18larfg_kernel_smallILi128E19rocblas_complex_numIdEldPKPS3_EEvT1_T3_llPT2_llS8_lS7_lPT0_l.has_indirect_call, 0
	.section	.AMDGPU.csdata,"",@progbits
; Kernel info:
; codeLenInByte = 2100
; TotalNumSgprs: 34
; NumVgprs: 27
; ScratchSize: 0
; MemoryBound: 0
; FloatMode: 240
; IeeeMode: 1
; LDSByteSize: 32 bytes/workgroup (compile time only)
; SGPRBlocks: 4
; VGPRBlocks: 6
; NumSGPRsForWavesPerEU: 34
; NumVGPRsForWavesPerEU: 27
; Occupancy: 9
; WaveLimiterHint : 1
; COMPUTE_PGM_RSRC2:SCRATCH_EN: 0
; COMPUTE_PGM_RSRC2:USER_SGPR: 6
; COMPUTE_PGM_RSRC2:TRAP_HANDLER: 0
; COMPUTE_PGM_RSRC2:TGID_X_EN: 1
; COMPUTE_PGM_RSRC2:TGID_Y_EN: 0
; COMPUTE_PGM_RSRC2:TGID_Z_EN: 1
; COMPUTE_PGM_RSRC2:TIDIG_COMP_CNT: 0
	.section	.text._ZN9rocsolver6v33100L18larfg_kernel_smallILi256E19rocblas_complex_numIdEldPKPS3_EEvT1_T3_llPT2_llS8_lS7_lPT0_l,"axG",@progbits,_ZN9rocsolver6v33100L18larfg_kernel_smallILi256E19rocblas_complex_numIdEldPKPS3_EEvT1_T3_llPT2_llS8_lS7_lPT0_l,comdat
	.globl	_ZN9rocsolver6v33100L18larfg_kernel_smallILi256E19rocblas_complex_numIdEldPKPS3_EEvT1_T3_llPT2_llS8_lS7_lPT0_l ; -- Begin function _ZN9rocsolver6v33100L18larfg_kernel_smallILi256E19rocblas_complex_numIdEldPKPS3_EEvT1_T3_llPT2_llS8_lS7_lPT0_l
	.p2align	8
	.type	_ZN9rocsolver6v33100L18larfg_kernel_smallILi256E19rocblas_complex_numIdEldPKPS3_EEvT1_T3_llPT2_llS8_lS7_lPT0_l,@function
_ZN9rocsolver6v33100L18larfg_kernel_smallILi256E19rocblas_complex_numIdEldPKPS3_EEvT1_T3_llPT2_llS8_lS7_lPT0_l: ; @_ZN9rocsolver6v33100L18larfg_kernel_smallILi256E19rocblas_complex_numIdEldPKPS3_EEvT1_T3_llPT2_llS8_lS7_lPT0_l
; %bb.0:
	s_mov_b32 s22, s7
	s_load_dwordx4 s[0:3], s[4:5], 0x0
	s_load_dwordx2 s[24:25], s[4:5], 0x10
	s_load_dwordx8 s[8:15], s[4:5], 0x20
	s_load_dwordx4 s[16:19], s[4:5], 0x40
	s_mov_b32 s23, 0
	s_lshl_b64 s[6:7], s[22:23], 3
	s_waitcnt lgkmcnt(0)
	s_add_u32 s2, s2, s6
	s_addc_u32 s3, s3, s7
	s_add_u32 s6, s14, s6
	s_addc_u32 s7, s15, s7
	s_load_dwordx2 s[14:15], s[6:7], 0x0
	s_cmp_eq_u64 s[8:9], 0
	s_mov_b64 s[20:21], 0
	s_cbranch_scc1 .LBB17_2
; %bb.1:
	s_mul_i32 s6, s13, s22
	s_mul_hi_u32 s7, s12, s22
	s_add_i32 s7, s7, s6
	s_mul_i32 s6, s12, s22
	s_lshl_b64 s[6:7], s[6:7], 3
	s_add_u32 s8, s8, s6
	s_addc_u32 s9, s9, s7
	s_lshl_b64 s[6:7], s[10:11], 3
	s_add_u32 s20, s8, s6
	s_addc_u32 s21, s9, s7
.LBB17_2:
	s_load_dwordx2 s[10:11], s[2:3], 0x0
	s_add_u32 s6, s0, -1
	v_mov_b32_e32 v1, 0
	s_addc_u32 s7, s1, -1
	v_cmp_gt_i64_e64 s[0:1], s[6:7], v[0:1]
	v_mov_b32_e32 v2, 0
	v_mov_b32_e32 v4, 0
	;; [unrolled: 1-line block ×4, first 2 shown]
	s_and_saveexec_b64 s[8:9], s[0:1]
	s_cbranch_execz .LBB17_6
; %bb.3:
	v_mad_u64_u32 v[2:3], s[2:3], s18, v0, 0
	s_lshl_b64 s[2:3], s[16:17], 4
	s_waitcnt lgkmcnt(0)
	s_add_u32 s2, s14, s2
	v_mad_u64_u32 v[3:4], s[12:13], s19, v0, v[3:4]
	s_addc_u32 s3, s15, s3
	v_mov_b32_e32 v4, s3
	v_lshlrev_b64 v[2:3], 4, v[2:3]
	s_lshl_b64 s[12:13], s[18:19], 12
	v_add_co_u32_e32 v6, vcc, s2, v2
	v_addc_co_u32_e32 v7, vcc, v4, v3, vcc
	v_mov_b32_e32 v2, 0
	v_mov_b32_e32 v4, 0
	;; [unrolled: 1-line block ×4, first 2 shown]
	s_mov_b64 s[26:27], 0
	v_mov_b32_e32 v10, s13
	v_mov_b32_e32 v5, 0
	;; [unrolled: 1-line block ×3, first 2 shown]
.LBB17_4:                               ; =>This Inner Loop Header: Depth=1
	flat_load_dwordx4 v[11:14], v[6:7]
	v_add_co_u32_e32 v8, vcc, 0x100, v8
	v_addc_co_u32_e32 v9, vcc, 0, v9, vcc
	v_cmp_le_i64_e32 vcc, s[6:7], v[8:9]
	v_add_co_u32_e64 v6, s[2:3], s12, v6
	s_or_b64 s[26:27], vcc, s[26:27]
	v_addc_co_u32_e64 v7, vcc, v7, v10, s[2:3]
	s_waitcnt vmcnt(0) lgkmcnt(0)
	v_mul_f64 v[15:16], v[13:14], v[13:14]
	v_mul_f64 v[17:18], v[11:12], v[13:14]
	v_fma_f64 v[15:16], v[11:12], v[11:12], v[15:16]
	v_fma_f64 v[11:12], v[11:12], v[13:14], -v[17:18]
	v_add_f64 v[4:5], v[4:5], v[15:16]
	v_add_f64 v[2:3], v[2:3], v[11:12]
	s_andn2_b64 exec, exec, s[26:27]
	s_cbranch_execnz .LBB17_4
; %bb.5:
	s_or_b64 exec, exec, s[26:27]
.LBB17_6:
	s_or_b64 exec, exec, s[8:9]
	v_mbcnt_lo_u32_b32 v6, -1, 0
	v_mbcnt_hi_u32_b32 v10, -1, v6
	v_and_b32_e32 v11, 63, v10
	v_cmp_ne_u32_e32 vcc, 63, v11
	v_addc_co_u32_e32 v6, vcc, 0, v10, vcc
	v_lshlrev_b32_e32 v9, 2, v6
	ds_bpermute_b32 v6, v9, v4
	ds_bpermute_b32 v7, v9, v5
	;; [unrolled: 1-line block ×4, first 2 shown]
	v_cmp_gt_u32_e32 vcc, 62, v11
	s_waitcnt lgkmcnt(0)
	v_add_f64 v[4:5], v[4:5], v[6:7]
	v_cndmask_b32_e64 v6, 0, 2, vcc
	v_add_f64 v[2:3], v[2:3], v[8:9]
	v_add_lshl_u32 v9, v6, v10, 2
	v_cmp_gt_u32_e32 vcc, 60, v11
	ds_bpermute_b32 v6, v9, v4
	ds_bpermute_b32 v7, v9, v5
	ds_bpermute_b32 v8, v9, v2
	ds_bpermute_b32 v9, v9, v3
	s_waitcnt lgkmcnt(2)
	v_add_f64 v[4:5], v[4:5], v[6:7]
	v_cndmask_b32_e64 v6, 0, 4, vcc
	s_waitcnt lgkmcnt(0)
	v_add_f64 v[2:3], v[2:3], v[8:9]
	v_add_lshl_u32 v9, v6, v10, 2
	v_cmp_gt_u32_e32 vcc, 56, v11
	ds_bpermute_b32 v6, v9, v4
	ds_bpermute_b32 v7, v9, v5
	ds_bpermute_b32 v8, v9, v2
	ds_bpermute_b32 v9, v9, v3
	s_waitcnt lgkmcnt(2)
	v_add_f64 v[4:5], v[4:5], v[6:7]
	v_cndmask_b32_e64 v6, 0, 8, vcc
	s_waitcnt lgkmcnt(0)
	;; [unrolled: 11-line block ×3, first 2 shown]
	v_add_f64 v[2:3], v[2:3], v[8:9]
	v_add_lshl_u32 v9, v6, v10, 2
	ds_bpermute_b32 v6, v9, v4
	ds_bpermute_b32 v7, v9, v5
	;; [unrolled: 1-line block ×4, first 2 shown]
	s_waitcnt lgkmcnt(2)
	v_add_f64 v[4:5], v[4:5], v[6:7]
	s_waitcnt lgkmcnt(0)
	v_add_f64 v[6:7], v[2:3], v[8:9]
	v_mov_b32_e32 v2, 0x80
	v_lshl_or_b32 v9, v10, 2, v2
	ds_bpermute_b32 v2, v9, v4
	ds_bpermute_b32 v3, v9, v5
	;; [unrolled: 1-line block ×4, first 2 shown]
	s_waitcnt lgkmcnt(2)
	v_add_f64 v[2:3], v[4:5], v[2:3]
	s_waitcnt lgkmcnt(0)
	v_add_f64 v[4:5], v[6:7], v[8:9]
	v_and_b32_e32 v6, 63, v0
	v_cmp_eq_u32_e32 vcc, 0, v6
	s_and_saveexec_b64 s[2:3], vcc
; %bb.7:
	v_lshrrev_b32_e32 v6, 2, v0
	ds_write_b128 v6, v[2:5]
; %bb.8:
	s_or_b64 exec, exec, s[2:3]
	v_cmp_eq_u32_e32 vcc, 0, v0
	s_waitcnt lgkmcnt(0)
	s_barrier
	s_and_saveexec_b64 s[2:3], vcc
	s_cbranch_execz .LBB17_10
; %bb.9:
	v_mov_b32_e32 v14, 0
	ds_read_b128 v[6:9], v14 offset:16
	ds_read_b128 v[10:13], v14 offset:32
	s_waitcnt lgkmcnt(1)
	v_add_f64 v[2:3], v[2:3], v[6:7]
	v_add_f64 v[4:5], v[4:5], v[8:9]
	s_waitcnt lgkmcnt(0)
	v_add_f64 v[6:7], v[2:3], v[10:11]
	v_add_f64 v[8:9], v[4:5], v[12:13]
	ds_read_b128 v[2:5], v14 offset:48
	s_waitcnt lgkmcnt(0)
	v_add_f64 v[2:3], v[6:7], v[2:3]
	v_add_f64 v[4:5], v[8:9], v[4:5]
	ds_write_b128 v14, v[2:5]
.LBB17_10:
	s_or_b64 exec, exec, s[2:3]
	s_waitcnt lgkmcnt(0)
	s_barrier
	s_and_saveexec_b64 s[8:9], vcc
	s_cbranch_execz .LBB17_18
; %bb.11:
	s_lshl_b64 s[2:3], s[24:25], 4
	s_add_u32 s10, s10, s2
	s_addc_u32 s11, s11, s3
	v_mov_b32_e32 v2, s10
	v_mov_b32_e32 v3, s11
	flat_load_dwordx2 v[5:6], v[2:3] offset:8
	v_mov_b32_e32 v4, 0
	ds_read_b64 v[9:10], v4
	s_load_dwordx4 s[24:27], s[4:5], 0x58
	s_waitcnt lgkmcnt(0)
	v_max_f64 v[2:3], v[9:10], v[9:10]
	s_mul_i32 s2, s27, s22
	s_mul_hi_u32 s3, s26, s22
	s_add_i32 s3, s3, s2
	s_mul_i32 s2, s26, s22
	s_lshl_b64 s[2:3], s[2:3], 4
	s_add_u32 s4, s24, s2
	s_addc_u32 s5, s25, s3
	s_cmp_eq_u64 s[20:21], 0
	s_cselect_b64 s[22:23], -1, 0
	s_cmp_lg_u64 s[20:21], 0
	s_mov_b64 s[2:3], 0
	s_cselect_b64 s[12:13], -1, 0
	s_mov_b64 s[24:25], 0
	s_waitcnt vmcnt(0)
	v_mul_f64 v[7:8], v[5:6], v[5:6]
	v_max_f64 v[2:3], v[2:3], v[7:8]
	v_cmp_nlt_f64_e32 vcc, 0, v[2:3]
                                        ; implicit-def: $vgpr2_vgpr3
	s_and_saveexec_b64 s[26:27], vcc
	s_xor_b64 s[26:27], exec, s[26:27]
	s_cbranch_execz .LBB17_14
; %bb.12:
	v_mov_b32_e32 v5, 0x3ff00000
	v_mov_b32_e32 v6, v4
	;; [unrolled: 1-line block ×3, first 2 shown]
	ds_write_b128 v4, v[4:7]
	v_mov_b32_e32 v5, v4
	s_and_b64 vcc, exec, s[12:13]
	global_store_dwordx4 v4, v[4:7], s[4:5]
	s_cbranch_vccz .LBB17_22
; %bb.13:
	v_mov_b32_e32 v2, s10
	v_mov_b32_e32 v3, s11
	flat_load_dwordx2 v[2:3], v[2:3]
	s_mov_b64 s[24:25], -1
	s_and_b64 s[24:25], s[24:25], exec
                                        ; implicit-def: $vgpr7_vgpr8
                                        ; implicit-def: $vgpr9_vgpr10
                                        ; implicit-def: $vgpr5_vgpr6
	s_andn2_saveexec_b64 s[26:27], s[26:27]
	s_cbranch_execz .LBB17_23
	s_branch .LBB17_15
.LBB17_14:
	s_andn2_saveexec_b64 s[26:27], s[26:27]
	s_cbranch_execz .LBB17_23
.LBB17_15:
	s_waitcnt vmcnt(0) lgkmcnt(0)
	v_mov_b32_e32 v2, s10
	v_mov_b32_e32 v3, s11
	flat_load_dwordx2 v[11:12], v[2:3]
	s_mov_b32 s2, 0
	s_brev_b32 s3, 8
	v_mov_b32_e32 v4, 0x100
	s_and_b64 s[12:13], s[12:13], exec
	s_waitcnt vmcnt(0) lgkmcnt(0)
	v_fma_f64 v[2:3], v[11:12], v[11:12], v[7:8]
	v_add_f64 v[2:3], v[9:10], v[2:3]
	v_cmp_gt_f64_e32 vcc, s[2:3], v[2:3]
	v_cndmask_b32_e32 v4, 0, v4, vcc
	v_ldexp_f64 v[2:3], v[2:3], v4
	v_mov_b32_e32 v4, 0xffffff80
	v_cndmask_b32_e32 v4, 0, v4, vcc
	v_rsq_f64_e32 v[9:10], v[2:3]
	v_mul_f64 v[13:14], v[2:3], v[9:10]
	v_mul_f64 v[9:10], v[9:10], 0.5
	v_fma_f64 v[15:16], -v[9:10], v[13:14], 0.5
	v_fma_f64 v[13:14], v[13:14], v[15:16], v[13:14]
	v_fma_f64 v[9:10], v[9:10], v[15:16], v[9:10]
	v_fma_f64 v[15:16], -v[13:14], v[13:14], v[2:3]
	v_fma_f64 v[13:14], v[15:16], v[9:10], v[13:14]
	v_fma_f64 v[15:16], -v[13:14], v[13:14], v[2:3]
	v_fma_f64 v[9:10], v[15:16], v[9:10], v[13:14]
	v_mov_b32_e32 v13, 0x260
	v_cmp_class_f64_e32 vcc, v[2:3], v13
	v_ldexp_f64 v[9:10], v[9:10], v4
	v_cndmask_b32_e32 v3, v10, v3, vcc
	v_cndmask_b32_e32 v2, v9, v2, vcc
	v_cmp_le_f64_e32 vcc, 0, v[11:12]
	v_xor_b32_e32 v4, 0x80000000, v3
	v_cndmask_b32_e32 v3, v3, v4, vcc
	v_add_f64 v[9:10], v[11:12], -v[2:3]
	v_add_f64 v[11:12], v[2:3], -v[11:12]
	v_mov_b32_e32 v4, 0
	v_fma_f64 v[13:14], v[9:10], v[9:10], v[7:8]
	v_div_scale_f64 v[7:8], s[2:3], v[13:14], v[13:14], v[9:10]
	v_div_scale_f64 v[15:16], s[2:3], v[13:14], v[13:14], -v[5:6]
	v_rcp_f64_e32 v[17:18], v[7:8]
	v_rcp_f64_e32 v[19:20], v[15:16]
	v_fma_f64 v[21:22], -v[7:8], v[17:18], 1.0
	v_fma_f64 v[23:24], -v[15:16], v[19:20], 1.0
	v_fma_f64 v[17:18], v[17:18], v[21:22], v[17:18]
	v_fma_f64 v[19:20], v[19:20], v[23:24], v[19:20]
	v_div_scale_f64 v[23:24], vcc, v[9:10], v[13:14], v[9:10]
	v_fma_f64 v[21:22], -v[7:8], v[17:18], 1.0
	v_fma_f64 v[17:18], v[17:18], v[21:22], v[17:18]
	v_fma_f64 v[21:22], -v[15:16], v[19:20], 1.0
	v_fma_f64 v[19:20], v[19:20], v[21:22], v[19:20]
	v_mul_f64 v[21:22], v[23:24], v[17:18]
	v_fma_f64 v[7:8], -v[7:8], v[21:22], v[23:24]
	v_div_scale_f64 v[23:24], s[2:3], -v[5:6], v[13:14], -v[5:6]
	v_div_fmas_f64 v[7:8], v[7:8], v[17:18], v[21:22]
	v_div_scale_f64 v[17:18], s[28:29], v[2:3], v[2:3], v[11:12]
	s_mov_b64 vcc, s[2:3]
	v_mul_f64 v[21:22], v[23:24], v[19:20]
	v_div_fixup_f64 v[7:8], v[7:8], v[13:14], v[9:10]
	v_fma_f64 v[15:16], -v[15:16], v[21:22], v[23:24]
	v_rcp_f64_e32 v[23:24], v[17:18]
	v_div_fmas_f64 v[15:16], v[15:16], v[19:20], v[21:22]
	v_div_scale_f64 v[19:20], vcc, v[11:12], v[2:3], v[11:12]
	v_fma_f64 v[25:26], -v[17:18], v[23:24], 1.0
	v_div_fixup_f64 v[9:10], v[15:16], v[13:14], -v[5:6]
	v_fma_f64 v[23:24], v[23:24], v[25:26], v[23:24]
	ds_write_b128 v4, v[7:10]
	v_fma_f64 v[21:22], -v[17:18], v[23:24], 1.0
	v_fma_f64 v[21:22], v[23:24], v[21:22], v[23:24]
	v_mul_f64 v[23:24], v[19:20], v[21:22]
	v_fma_f64 v[17:18], -v[17:18], v[23:24], v[19:20]
	v_div_scale_f64 v[19:20], s[2:3], v[2:3], v[2:3], -v[5:6]
	s_and_b64 s[2:3], s[22:23], exec
	s_andn2_b64 s[22:23], s[24:25], exec
	s_or_b64 s[24:25], s[22:23], s[12:13]
	v_div_fmas_f64 v[17:18], v[17:18], v[21:22], v[23:24]
	v_rcp_f64_e32 v[21:22], v[19:20]
	v_div_fixup_f64 v[11:12], v[17:18], v[2:3], v[11:12]
	v_fma_f64 v[23:24], -v[19:20], v[21:22], 1.0
	v_fma_f64 v[21:22], v[21:22], v[23:24], v[21:22]
	v_fma_f64 v[23:24], -v[19:20], v[21:22], 1.0
	v_fma_f64 v[21:22], v[21:22], v[23:24], v[21:22]
	v_div_scale_f64 v[23:24], vcc, -v[5:6], v[2:3], -v[5:6]
	v_mul_f64 v[25:26], v[23:24], v[21:22]
	v_fma_f64 v[19:20], -v[19:20], v[25:26], v[23:24]
	s_nop 1
	v_div_fmas_f64 v[19:20], v[19:20], v[21:22], v[25:26]
	v_div_fixup_f64 v[13:14], v[19:20], v[2:3], -v[5:6]
	global_store_dwordx4 v4, v[11:14], s[4:5]
	s_or_b64 exec, exec, s[26:27]
	s_and_saveexec_b64 s[4:5], s[24:25]
	s_cbranch_execnz .LBB17_24
.LBB17_16:
	s_or_b64 exec, exec, s[4:5]
	s_and_b64 exec, exec, s[2:3]
	s_cbranch_execz .LBB17_18
.LBB17_17:
	v_mov_b32_e32 v4, 0
	v_mov_b32_e32 v6, s10
	;; [unrolled: 1-line block ×4, first 2 shown]
	s_waitcnt vmcnt(0) lgkmcnt(0)
	flat_store_dwordx4 v[6:7], v[2:5]
.LBB17_18:
	s_or_b64 exec, exec, s[8:9]
	s_waitcnt vmcnt(0) lgkmcnt(0)
	s_barrier
	s_and_saveexec_b64 s[2:3], s[0:1]
	s_cbranch_execz .LBB17_21
; %bb.19:
	v_mad_u64_u32 v[6:7], s[0:1], s18, v0, 0
	v_mov_b32_e32 v3, 0
	s_mov_b64 s[2:3], 0
	v_mov_b32_e32 v2, v7
	v_mad_u64_u32 v[7:8], s[0:1], s19, v0, v[2:3]
	s_lshl_b64 s[0:1], s[16:17], 4
	ds_read_b128 v[2:5], v3
	s_add_u32 s0, s14, s0
	v_lshlrev_b64 v[6:7], 4, v[6:7]
	s_addc_u32 s1, s15, s1
	v_mov_b32_e32 v8, s1
	v_add_co_u32_e32 v6, vcc, s0, v6
	s_lshl_b64 s[0:1], s[18:19], 12
	v_addc_co_u32_e32 v7, vcc, v8, v7, vcc
	v_mov_b32_e32 v8, s1
.LBB17_20:                              ; =>This Inner Loop Header: Depth=1
	flat_load_dwordx4 v[9:12], v[6:7]
	v_add_co_u32_e32 v0, vcc, 0x100, v0
	v_addc_co_u32_e32 v1, vcc, 0, v1, vcc
	v_cmp_le_i64_e32 vcc, s[6:7], v[0:1]
	s_or_b64 s[2:3], vcc, s[2:3]
	s_waitcnt vmcnt(0) lgkmcnt(0)
	v_mul_f64 v[13:14], v[4:5], v[11:12]
	v_mul_f64 v[15:16], v[2:3], v[11:12]
	v_fma_f64 v[11:12], v[2:3], v[9:10], -v[13:14]
	v_fma_f64 v[13:14], v[4:5], v[9:10], v[15:16]
	flat_store_dwordx4 v[6:7], v[11:14]
	v_add_co_u32_e32 v6, vcc, s0, v6
	v_addc_co_u32_e32 v7, vcc, v7, v8, vcc
	s_andn2_b64 exec, exec, s[2:3]
	s_cbranch_execnz .LBB17_20
.LBB17_21:
	s_endpgm
.LBB17_22:
                                        ; implicit-def: $vgpr2_vgpr3
	s_and_b64 s[24:25], s[24:25], exec
                                        ; implicit-def: $vgpr7_vgpr8
                                        ; implicit-def: $vgpr9_vgpr10
                                        ; implicit-def: $vgpr5_vgpr6
	s_andn2_saveexec_b64 s[26:27], s[26:27]
	s_cbranch_execnz .LBB17_15
.LBB17_23:
	s_or_b64 exec, exec, s[26:27]
	s_and_saveexec_b64 s[4:5], s[24:25]
	s_cbranch_execz .LBB17_16
.LBB17_24:
	v_mov_b32_e32 v4, 0
	s_waitcnt vmcnt(0) lgkmcnt(0)
	global_store_dwordx2 v4, v[2:3], s[20:21]
	v_mov_b32_e32 v2, 0
	v_mov_b32_e32 v3, 0x3ff00000
	s_or_b64 s[2:3], s[2:3], exec
	s_or_b64 exec, exec, s[4:5]
	s_and_b64 exec, exec, s[2:3]
	s_cbranch_execnz .LBB17_17
	s_branch .LBB17_18
	.section	.rodata,"a",@progbits
	.p2align	6, 0x0
	.amdhsa_kernel _ZN9rocsolver6v33100L18larfg_kernel_smallILi256E19rocblas_complex_numIdEldPKPS3_EEvT1_T3_llPT2_llS8_lS7_lPT0_l
		.amdhsa_group_segment_fixed_size 64
		.amdhsa_private_segment_fixed_size 0
		.amdhsa_kernarg_size 104
		.amdhsa_user_sgpr_count 6
		.amdhsa_user_sgpr_private_segment_buffer 1
		.amdhsa_user_sgpr_dispatch_ptr 0
		.amdhsa_user_sgpr_queue_ptr 0
		.amdhsa_user_sgpr_kernarg_segment_ptr 1
		.amdhsa_user_sgpr_dispatch_id 0
		.amdhsa_user_sgpr_flat_scratch_init 0
		.amdhsa_user_sgpr_private_segment_size 0
		.amdhsa_uses_dynamic_stack 0
		.amdhsa_system_sgpr_private_segment_wavefront_offset 0
		.amdhsa_system_sgpr_workgroup_id_x 1
		.amdhsa_system_sgpr_workgroup_id_y 0
		.amdhsa_system_sgpr_workgroup_id_z 1
		.amdhsa_system_sgpr_workgroup_info 0
		.amdhsa_system_vgpr_workitem_id 0
		.amdhsa_next_free_vgpr 27
		.amdhsa_next_free_sgpr 30
		.amdhsa_reserve_vcc 1
		.amdhsa_reserve_flat_scratch 0
		.amdhsa_float_round_mode_32 0
		.amdhsa_float_round_mode_16_64 0
		.amdhsa_float_denorm_mode_32 3
		.amdhsa_float_denorm_mode_16_64 3
		.amdhsa_dx10_clamp 1
		.amdhsa_ieee_mode 1
		.amdhsa_fp16_overflow 0
		.amdhsa_exception_fp_ieee_invalid_op 0
		.amdhsa_exception_fp_denorm_src 0
		.amdhsa_exception_fp_ieee_div_zero 0
		.amdhsa_exception_fp_ieee_overflow 0
		.amdhsa_exception_fp_ieee_underflow 0
		.amdhsa_exception_fp_ieee_inexact 0
		.amdhsa_exception_int_div_zero 0
	.end_amdhsa_kernel
	.section	.text._ZN9rocsolver6v33100L18larfg_kernel_smallILi256E19rocblas_complex_numIdEldPKPS3_EEvT1_T3_llPT2_llS8_lS7_lPT0_l,"axG",@progbits,_ZN9rocsolver6v33100L18larfg_kernel_smallILi256E19rocblas_complex_numIdEldPKPS3_EEvT1_T3_llPT2_llS8_lS7_lPT0_l,comdat
.Lfunc_end17:
	.size	_ZN9rocsolver6v33100L18larfg_kernel_smallILi256E19rocblas_complex_numIdEldPKPS3_EEvT1_T3_llPT2_llS8_lS7_lPT0_l, .Lfunc_end17-_ZN9rocsolver6v33100L18larfg_kernel_smallILi256E19rocblas_complex_numIdEldPKPS3_EEvT1_T3_llPT2_llS8_lS7_lPT0_l
                                        ; -- End function
	.set _ZN9rocsolver6v33100L18larfg_kernel_smallILi256E19rocblas_complex_numIdEldPKPS3_EEvT1_T3_llPT2_llS8_lS7_lPT0_l.num_vgpr, 27
	.set _ZN9rocsolver6v33100L18larfg_kernel_smallILi256E19rocblas_complex_numIdEldPKPS3_EEvT1_T3_llPT2_llS8_lS7_lPT0_l.num_agpr, 0
	.set _ZN9rocsolver6v33100L18larfg_kernel_smallILi256E19rocblas_complex_numIdEldPKPS3_EEvT1_T3_llPT2_llS8_lS7_lPT0_l.numbered_sgpr, 30
	.set _ZN9rocsolver6v33100L18larfg_kernel_smallILi256E19rocblas_complex_numIdEldPKPS3_EEvT1_T3_llPT2_llS8_lS7_lPT0_l.num_named_barrier, 0
	.set _ZN9rocsolver6v33100L18larfg_kernel_smallILi256E19rocblas_complex_numIdEldPKPS3_EEvT1_T3_llPT2_llS8_lS7_lPT0_l.private_seg_size, 0
	.set _ZN9rocsolver6v33100L18larfg_kernel_smallILi256E19rocblas_complex_numIdEldPKPS3_EEvT1_T3_llPT2_llS8_lS7_lPT0_l.uses_vcc, 1
	.set _ZN9rocsolver6v33100L18larfg_kernel_smallILi256E19rocblas_complex_numIdEldPKPS3_EEvT1_T3_llPT2_llS8_lS7_lPT0_l.uses_flat_scratch, 0
	.set _ZN9rocsolver6v33100L18larfg_kernel_smallILi256E19rocblas_complex_numIdEldPKPS3_EEvT1_T3_llPT2_llS8_lS7_lPT0_l.has_dyn_sized_stack, 0
	.set _ZN9rocsolver6v33100L18larfg_kernel_smallILi256E19rocblas_complex_numIdEldPKPS3_EEvT1_T3_llPT2_llS8_lS7_lPT0_l.has_recursion, 0
	.set _ZN9rocsolver6v33100L18larfg_kernel_smallILi256E19rocblas_complex_numIdEldPKPS3_EEvT1_T3_llPT2_llS8_lS7_lPT0_l.has_indirect_call, 0
	.section	.AMDGPU.csdata,"",@progbits
; Kernel info:
; codeLenInByte = 2156
; TotalNumSgprs: 34
; NumVgprs: 27
; ScratchSize: 0
; MemoryBound: 0
; FloatMode: 240
; IeeeMode: 1
; LDSByteSize: 64 bytes/workgroup (compile time only)
; SGPRBlocks: 4
; VGPRBlocks: 6
; NumSGPRsForWavesPerEU: 34
; NumVGPRsForWavesPerEU: 27
; Occupancy: 9
; WaveLimiterHint : 1
; COMPUTE_PGM_RSRC2:SCRATCH_EN: 0
; COMPUTE_PGM_RSRC2:USER_SGPR: 6
; COMPUTE_PGM_RSRC2:TRAP_HANDLER: 0
; COMPUTE_PGM_RSRC2:TGID_X_EN: 1
; COMPUTE_PGM_RSRC2:TGID_Y_EN: 0
; COMPUTE_PGM_RSRC2:TGID_Z_EN: 1
; COMPUTE_PGM_RSRC2:TIDIG_COMP_CNT: 0
	.section	.text._ZN9rocsolver6v33100L18larfg_kernel_smallILi512E19rocblas_complex_numIdEldPKPS3_EEvT1_T3_llPT2_llS8_lS7_lPT0_l,"axG",@progbits,_ZN9rocsolver6v33100L18larfg_kernel_smallILi512E19rocblas_complex_numIdEldPKPS3_EEvT1_T3_llPT2_llS8_lS7_lPT0_l,comdat
	.globl	_ZN9rocsolver6v33100L18larfg_kernel_smallILi512E19rocblas_complex_numIdEldPKPS3_EEvT1_T3_llPT2_llS8_lS7_lPT0_l ; -- Begin function _ZN9rocsolver6v33100L18larfg_kernel_smallILi512E19rocblas_complex_numIdEldPKPS3_EEvT1_T3_llPT2_llS8_lS7_lPT0_l
	.p2align	8
	.type	_ZN9rocsolver6v33100L18larfg_kernel_smallILi512E19rocblas_complex_numIdEldPKPS3_EEvT1_T3_llPT2_llS8_lS7_lPT0_l,@function
_ZN9rocsolver6v33100L18larfg_kernel_smallILi512E19rocblas_complex_numIdEldPKPS3_EEvT1_T3_llPT2_llS8_lS7_lPT0_l: ; @_ZN9rocsolver6v33100L18larfg_kernel_smallILi512E19rocblas_complex_numIdEldPKPS3_EEvT1_T3_llPT2_llS8_lS7_lPT0_l
; %bb.0:
	s_mov_b32 s22, s7
	s_load_dwordx4 s[0:3], s[4:5], 0x0
	s_load_dwordx2 s[24:25], s[4:5], 0x10
	s_load_dwordx8 s[8:15], s[4:5], 0x20
	s_load_dwordx4 s[16:19], s[4:5], 0x40
	s_mov_b32 s23, 0
	s_lshl_b64 s[6:7], s[22:23], 3
	s_waitcnt lgkmcnt(0)
	s_add_u32 s2, s2, s6
	s_addc_u32 s3, s3, s7
	s_add_u32 s6, s14, s6
	s_addc_u32 s7, s15, s7
	s_load_dwordx2 s[14:15], s[6:7], 0x0
	s_cmp_eq_u64 s[8:9], 0
	s_mov_b64 s[20:21], 0
	s_cbranch_scc1 .LBB18_2
; %bb.1:
	s_mul_i32 s6, s13, s22
	s_mul_hi_u32 s7, s12, s22
	s_add_i32 s7, s7, s6
	s_mul_i32 s6, s12, s22
	s_lshl_b64 s[6:7], s[6:7], 3
	s_add_u32 s8, s8, s6
	s_addc_u32 s9, s9, s7
	s_lshl_b64 s[6:7], s[10:11], 3
	s_add_u32 s20, s8, s6
	s_addc_u32 s21, s9, s7
.LBB18_2:
	s_load_dwordx2 s[10:11], s[2:3], 0x0
	s_add_u32 s6, s0, -1
	v_mov_b32_e32 v1, 0
	s_addc_u32 s7, s1, -1
	v_cmp_gt_i64_e64 s[0:1], s[6:7], v[0:1]
	v_mov_b32_e32 v2, 0
	v_mov_b32_e32 v4, 0
	v_mov_b32_e32 v3, 0
	v_mov_b32_e32 v5, 0
	s_and_saveexec_b64 s[8:9], s[0:1]
	s_cbranch_execz .LBB18_6
; %bb.3:
	v_mad_u64_u32 v[2:3], s[2:3], s18, v0, 0
	s_lshl_b64 s[2:3], s[16:17], 4
	s_waitcnt lgkmcnt(0)
	s_add_u32 s2, s14, s2
	v_mad_u64_u32 v[3:4], s[12:13], s19, v0, v[3:4]
	s_addc_u32 s3, s15, s3
	v_mov_b32_e32 v4, s3
	v_lshlrev_b64 v[2:3], 4, v[2:3]
	s_lshl_b64 s[12:13], s[18:19], 13
	v_add_co_u32_e32 v6, vcc, s2, v2
	v_addc_co_u32_e32 v7, vcc, v4, v3, vcc
	v_mov_b32_e32 v2, 0
	v_mov_b32_e32 v4, 0
	;; [unrolled: 1-line block ×4, first 2 shown]
	s_mov_b64 s[26:27], 0
	v_mov_b32_e32 v10, s13
	v_mov_b32_e32 v5, 0
	;; [unrolled: 1-line block ×3, first 2 shown]
.LBB18_4:                               ; =>This Inner Loop Header: Depth=1
	flat_load_dwordx4 v[11:14], v[6:7]
	v_add_co_u32_e32 v8, vcc, 0x200, v8
	v_addc_co_u32_e32 v9, vcc, 0, v9, vcc
	v_cmp_le_i64_e32 vcc, s[6:7], v[8:9]
	v_add_co_u32_e64 v6, s[2:3], s12, v6
	s_or_b64 s[26:27], vcc, s[26:27]
	v_addc_co_u32_e64 v7, vcc, v7, v10, s[2:3]
	s_waitcnt vmcnt(0) lgkmcnt(0)
	v_mul_f64 v[15:16], v[13:14], v[13:14]
	v_mul_f64 v[17:18], v[11:12], v[13:14]
	v_fma_f64 v[15:16], v[11:12], v[11:12], v[15:16]
	v_fma_f64 v[11:12], v[11:12], v[13:14], -v[17:18]
	v_add_f64 v[4:5], v[4:5], v[15:16]
	v_add_f64 v[2:3], v[2:3], v[11:12]
	s_andn2_b64 exec, exec, s[26:27]
	s_cbranch_execnz .LBB18_4
; %bb.5:
	s_or_b64 exec, exec, s[26:27]
.LBB18_6:
	s_or_b64 exec, exec, s[8:9]
	v_mbcnt_lo_u32_b32 v6, -1, 0
	v_mbcnt_hi_u32_b32 v10, -1, v6
	v_and_b32_e32 v11, 63, v10
	v_cmp_ne_u32_e32 vcc, 63, v11
	v_addc_co_u32_e32 v6, vcc, 0, v10, vcc
	v_lshlrev_b32_e32 v9, 2, v6
	ds_bpermute_b32 v6, v9, v4
	ds_bpermute_b32 v7, v9, v5
	;; [unrolled: 1-line block ×4, first 2 shown]
	v_cmp_gt_u32_e32 vcc, 62, v11
	s_waitcnt lgkmcnt(0)
	v_add_f64 v[4:5], v[4:5], v[6:7]
	v_cndmask_b32_e64 v6, 0, 2, vcc
	v_add_f64 v[2:3], v[2:3], v[8:9]
	v_add_lshl_u32 v9, v6, v10, 2
	v_cmp_gt_u32_e32 vcc, 60, v11
	ds_bpermute_b32 v6, v9, v4
	ds_bpermute_b32 v7, v9, v5
	ds_bpermute_b32 v8, v9, v2
	ds_bpermute_b32 v9, v9, v3
	s_waitcnt lgkmcnt(2)
	v_add_f64 v[4:5], v[4:5], v[6:7]
	v_cndmask_b32_e64 v6, 0, 4, vcc
	s_waitcnt lgkmcnt(0)
	v_add_f64 v[2:3], v[2:3], v[8:9]
	v_add_lshl_u32 v9, v6, v10, 2
	v_cmp_gt_u32_e32 vcc, 56, v11
	ds_bpermute_b32 v6, v9, v4
	ds_bpermute_b32 v7, v9, v5
	ds_bpermute_b32 v8, v9, v2
	ds_bpermute_b32 v9, v9, v3
	s_waitcnt lgkmcnt(2)
	v_add_f64 v[4:5], v[4:5], v[6:7]
	v_cndmask_b32_e64 v6, 0, 8, vcc
	s_waitcnt lgkmcnt(0)
	;; [unrolled: 11-line block ×3, first 2 shown]
	v_add_f64 v[2:3], v[2:3], v[8:9]
	v_add_lshl_u32 v9, v6, v10, 2
	ds_bpermute_b32 v6, v9, v4
	ds_bpermute_b32 v7, v9, v5
	;; [unrolled: 1-line block ×4, first 2 shown]
	s_waitcnt lgkmcnt(2)
	v_add_f64 v[4:5], v[4:5], v[6:7]
	s_waitcnt lgkmcnt(0)
	v_add_f64 v[6:7], v[2:3], v[8:9]
	v_mov_b32_e32 v2, 0x80
	v_lshl_or_b32 v9, v10, 2, v2
	ds_bpermute_b32 v2, v9, v4
	ds_bpermute_b32 v3, v9, v5
	;; [unrolled: 1-line block ×4, first 2 shown]
	s_waitcnt lgkmcnt(2)
	v_add_f64 v[2:3], v[4:5], v[2:3]
	s_waitcnt lgkmcnt(0)
	v_add_f64 v[4:5], v[6:7], v[8:9]
	v_and_b32_e32 v6, 63, v0
	v_cmp_eq_u32_e32 vcc, 0, v6
	s_and_saveexec_b64 s[2:3], vcc
; %bb.7:
	v_lshrrev_b32_e32 v6, 2, v0
	ds_write_b128 v6, v[2:5]
; %bb.8:
	s_or_b64 exec, exec, s[2:3]
	v_cmp_eq_u32_e32 vcc, 0, v0
	s_waitcnt lgkmcnt(0)
	s_barrier
	s_and_saveexec_b64 s[2:3], vcc
	s_cbranch_execz .LBB18_10
; %bb.9:
	v_mov_b32_e32 v14, 0
	ds_read_b128 v[6:9], v14 offset:16
	ds_read_b128 v[10:13], v14 offset:32
	s_waitcnt lgkmcnt(1)
	v_add_f64 v[2:3], v[2:3], v[6:7]
	v_add_f64 v[4:5], v[4:5], v[8:9]
	s_waitcnt lgkmcnt(0)
	v_add_f64 v[10:11], v[2:3], v[10:11]
	v_add_f64 v[12:13], v[4:5], v[12:13]
	ds_read_b128 v[2:5], v14 offset:48
	ds_read_b128 v[6:9], v14 offset:64
	s_waitcnt lgkmcnt(1)
	v_add_f64 v[2:3], v[10:11], v[2:3]
	v_add_f64 v[4:5], v[12:13], v[4:5]
	s_waitcnt lgkmcnt(0)
	v_add_f64 v[10:11], v[2:3], v[6:7]
	v_add_f64 v[12:13], v[4:5], v[8:9]
	;; [unrolled: 8-line block ×3, first 2 shown]
	ds_read_b128 v[2:5], v14 offset:112
	s_waitcnt lgkmcnt(0)
	v_add_f64 v[2:3], v[6:7], v[2:3]
	v_add_f64 v[4:5], v[8:9], v[4:5]
	ds_write_b128 v14, v[2:5]
.LBB18_10:
	s_or_b64 exec, exec, s[2:3]
	s_waitcnt lgkmcnt(0)
	s_barrier
	s_and_saveexec_b64 s[8:9], vcc
	s_cbranch_execz .LBB18_18
; %bb.11:
	s_lshl_b64 s[2:3], s[24:25], 4
	s_add_u32 s10, s10, s2
	s_addc_u32 s11, s11, s3
	v_mov_b32_e32 v2, s10
	v_mov_b32_e32 v3, s11
	flat_load_dwordx2 v[5:6], v[2:3] offset:8
	v_mov_b32_e32 v4, 0
	ds_read_b64 v[9:10], v4
	s_load_dwordx4 s[24:27], s[4:5], 0x58
	s_waitcnt lgkmcnt(0)
	v_max_f64 v[2:3], v[9:10], v[9:10]
	s_mul_i32 s2, s27, s22
	s_mul_hi_u32 s3, s26, s22
	s_add_i32 s3, s3, s2
	s_mul_i32 s2, s26, s22
	s_lshl_b64 s[2:3], s[2:3], 4
	s_add_u32 s4, s24, s2
	s_addc_u32 s5, s25, s3
	s_cmp_eq_u64 s[20:21], 0
	s_cselect_b64 s[22:23], -1, 0
	s_cmp_lg_u64 s[20:21], 0
	s_mov_b64 s[2:3], 0
	s_cselect_b64 s[12:13], -1, 0
	s_mov_b64 s[24:25], 0
	s_waitcnt vmcnt(0)
	v_mul_f64 v[7:8], v[5:6], v[5:6]
	v_max_f64 v[2:3], v[2:3], v[7:8]
	v_cmp_nlt_f64_e32 vcc, 0, v[2:3]
                                        ; implicit-def: $vgpr2_vgpr3
	s_and_saveexec_b64 s[26:27], vcc
	s_xor_b64 s[26:27], exec, s[26:27]
	s_cbranch_execz .LBB18_14
; %bb.12:
	v_mov_b32_e32 v5, 0x3ff00000
	v_mov_b32_e32 v6, v4
	;; [unrolled: 1-line block ×3, first 2 shown]
	ds_write_b128 v4, v[4:7]
	v_mov_b32_e32 v5, v4
	s_and_b64 vcc, exec, s[12:13]
	global_store_dwordx4 v4, v[4:7], s[4:5]
	s_cbranch_vccz .LBB18_22
; %bb.13:
	v_mov_b32_e32 v2, s10
	v_mov_b32_e32 v3, s11
	flat_load_dwordx2 v[2:3], v[2:3]
	s_mov_b64 s[24:25], -1
	s_and_b64 s[24:25], s[24:25], exec
                                        ; implicit-def: $vgpr7_vgpr8
                                        ; implicit-def: $vgpr9_vgpr10
                                        ; implicit-def: $vgpr5_vgpr6
	s_andn2_saveexec_b64 s[26:27], s[26:27]
	s_cbranch_execz .LBB18_23
	s_branch .LBB18_15
.LBB18_14:
	s_andn2_saveexec_b64 s[26:27], s[26:27]
	s_cbranch_execz .LBB18_23
.LBB18_15:
	s_waitcnt vmcnt(0) lgkmcnt(0)
	v_mov_b32_e32 v2, s10
	v_mov_b32_e32 v3, s11
	flat_load_dwordx2 v[11:12], v[2:3]
	s_mov_b32 s2, 0
	s_brev_b32 s3, 8
	v_mov_b32_e32 v4, 0x100
	s_and_b64 s[12:13], s[12:13], exec
	s_waitcnt vmcnt(0) lgkmcnt(0)
	v_fma_f64 v[2:3], v[11:12], v[11:12], v[7:8]
	v_add_f64 v[2:3], v[9:10], v[2:3]
	v_cmp_gt_f64_e32 vcc, s[2:3], v[2:3]
	v_cndmask_b32_e32 v4, 0, v4, vcc
	v_ldexp_f64 v[2:3], v[2:3], v4
	v_mov_b32_e32 v4, 0xffffff80
	v_cndmask_b32_e32 v4, 0, v4, vcc
	v_rsq_f64_e32 v[9:10], v[2:3]
	v_mul_f64 v[13:14], v[2:3], v[9:10]
	v_mul_f64 v[9:10], v[9:10], 0.5
	v_fma_f64 v[15:16], -v[9:10], v[13:14], 0.5
	v_fma_f64 v[13:14], v[13:14], v[15:16], v[13:14]
	v_fma_f64 v[9:10], v[9:10], v[15:16], v[9:10]
	v_fma_f64 v[15:16], -v[13:14], v[13:14], v[2:3]
	v_fma_f64 v[13:14], v[15:16], v[9:10], v[13:14]
	v_fma_f64 v[15:16], -v[13:14], v[13:14], v[2:3]
	v_fma_f64 v[9:10], v[15:16], v[9:10], v[13:14]
	v_mov_b32_e32 v13, 0x260
	v_cmp_class_f64_e32 vcc, v[2:3], v13
	v_ldexp_f64 v[9:10], v[9:10], v4
	v_cndmask_b32_e32 v3, v10, v3, vcc
	v_cndmask_b32_e32 v2, v9, v2, vcc
	v_cmp_le_f64_e32 vcc, 0, v[11:12]
	v_xor_b32_e32 v4, 0x80000000, v3
	v_cndmask_b32_e32 v3, v3, v4, vcc
	v_add_f64 v[9:10], v[11:12], -v[2:3]
	v_add_f64 v[11:12], v[2:3], -v[11:12]
	v_mov_b32_e32 v4, 0
	v_fma_f64 v[13:14], v[9:10], v[9:10], v[7:8]
	v_div_scale_f64 v[7:8], s[2:3], v[13:14], v[13:14], v[9:10]
	v_div_scale_f64 v[15:16], s[2:3], v[13:14], v[13:14], -v[5:6]
	v_rcp_f64_e32 v[17:18], v[7:8]
	v_rcp_f64_e32 v[19:20], v[15:16]
	v_fma_f64 v[21:22], -v[7:8], v[17:18], 1.0
	v_fma_f64 v[23:24], -v[15:16], v[19:20], 1.0
	v_fma_f64 v[17:18], v[17:18], v[21:22], v[17:18]
	v_fma_f64 v[19:20], v[19:20], v[23:24], v[19:20]
	v_div_scale_f64 v[23:24], vcc, v[9:10], v[13:14], v[9:10]
	v_fma_f64 v[21:22], -v[7:8], v[17:18], 1.0
	v_fma_f64 v[17:18], v[17:18], v[21:22], v[17:18]
	v_fma_f64 v[21:22], -v[15:16], v[19:20], 1.0
	v_fma_f64 v[19:20], v[19:20], v[21:22], v[19:20]
	v_mul_f64 v[21:22], v[23:24], v[17:18]
	v_fma_f64 v[7:8], -v[7:8], v[21:22], v[23:24]
	v_div_scale_f64 v[23:24], s[2:3], -v[5:6], v[13:14], -v[5:6]
	v_div_fmas_f64 v[7:8], v[7:8], v[17:18], v[21:22]
	v_div_scale_f64 v[17:18], s[28:29], v[2:3], v[2:3], v[11:12]
	s_mov_b64 vcc, s[2:3]
	v_mul_f64 v[21:22], v[23:24], v[19:20]
	v_div_fixup_f64 v[7:8], v[7:8], v[13:14], v[9:10]
	v_fma_f64 v[15:16], -v[15:16], v[21:22], v[23:24]
	v_rcp_f64_e32 v[23:24], v[17:18]
	v_div_fmas_f64 v[15:16], v[15:16], v[19:20], v[21:22]
	v_div_scale_f64 v[19:20], vcc, v[11:12], v[2:3], v[11:12]
	v_fma_f64 v[25:26], -v[17:18], v[23:24], 1.0
	v_div_fixup_f64 v[9:10], v[15:16], v[13:14], -v[5:6]
	v_fma_f64 v[23:24], v[23:24], v[25:26], v[23:24]
	ds_write_b128 v4, v[7:10]
	v_fma_f64 v[21:22], -v[17:18], v[23:24], 1.0
	v_fma_f64 v[21:22], v[23:24], v[21:22], v[23:24]
	v_mul_f64 v[23:24], v[19:20], v[21:22]
	v_fma_f64 v[17:18], -v[17:18], v[23:24], v[19:20]
	v_div_scale_f64 v[19:20], s[2:3], v[2:3], v[2:3], -v[5:6]
	s_and_b64 s[2:3], s[22:23], exec
	s_andn2_b64 s[22:23], s[24:25], exec
	s_or_b64 s[24:25], s[22:23], s[12:13]
	v_div_fmas_f64 v[17:18], v[17:18], v[21:22], v[23:24]
	v_rcp_f64_e32 v[21:22], v[19:20]
	v_div_fixup_f64 v[11:12], v[17:18], v[2:3], v[11:12]
	v_fma_f64 v[23:24], -v[19:20], v[21:22], 1.0
	v_fma_f64 v[21:22], v[21:22], v[23:24], v[21:22]
	v_fma_f64 v[23:24], -v[19:20], v[21:22], 1.0
	v_fma_f64 v[21:22], v[21:22], v[23:24], v[21:22]
	v_div_scale_f64 v[23:24], vcc, -v[5:6], v[2:3], -v[5:6]
	v_mul_f64 v[25:26], v[23:24], v[21:22]
	v_fma_f64 v[19:20], -v[19:20], v[25:26], v[23:24]
	s_nop 1
	v_div_fmas_f64 v[19:20], v[19:20], v[21:22], v[25:26]
	v_div_fixup_f64 v[13:14], v[19:20], v[2:3], -v[5:6]
	global_store_dwordx4 v4, v[11:14], s[4:5]
	s_or_b64 exec, exec, s[26:27]
	s_and_saveexec_b64 s[4:5], s[24:25]
	s_cbranch_execnz .LBB18_24
.LBB18_16:
	s_or_b64 exec, exec, s[4:5]
	s_and_b64 exec, exec, s[2:3]
	s_cbranch_execz .LBB18_18
.LBB18_17:
	v_mov_b32_e32 v4, 0
	v_mov_b32_e32 v6, s10
	;; [unrolled: 1-line block ×4, first 2 shown]
	s_waitcnt vmcnt(0) lgkmcnt(0)
	flat_store_dwordx4 v[6:7], v[2:5]
.LBB18_18:
	s_or_b64 exec, exec, s[8:9]
	s_waitcnt vmcnt(0) lgkmcnt(0)
	s_barrier
	s_and_saveexec_b64 s[2:3], s[0:1]
	s_cbranch_execz .LBB18_21
; %bb.19:
	v_mad_u64_u32 v[6:7], s[0:1], s18, v0, 0
	v_mov_b32_e32 v3, 0
	s_mov_b64 s[2:3], 0
	v_mov_b32_e32 v2, v7
	v_mad_u64_u32 v[7:8], s[0:1], s19, v0, v[2:3]
	s_lshl_b64 s[0:1], s[16:17], 4
	ds_read_b128 v[2:5], v3
	s_add_u32 s0, s14, s0
	v_lshlrev_b64 v[6:7], 4, v[6:7]
	s_addc_u32 s1, s15, s1
	v_mov_b32_e32 v8, s1
	v_add_co_u32_e32 v6, vcc, s0, v6
	s_lshl_b64 s[0:1], s[18:19], 13
	v_addc_co_u32_e32 v7, vcc, v8, v7, vcc
	v_mov_b32_e32 v8, s1
.LBB18_20:                              ; =>This Inner Loop Header: Depth=1
	flat_load_dwordx4 v[9:12], v[6:7]
	v_add_co_u32_e32 v0, vcc, 0x200, v0
	v_addc_co_u32_e32 v1, vcc, 0, v1, vcc
	v_cmp_le_i64_e32 vcc, s[6:7], v[0:1]
	s_or_b64 s[2:3], vcc, s[2:3]
	s_waitcnt vmcnt(0) lgkmcnt(0)
	v_mul_f64 v[13:14], v[4:5], v[11:12]
	v_mul_f64 v[15:16], v[2:3], v[11:12]
	v_fma_f64 v[11:12], v[2:3], v[9:10], -v[13:14]
	v_fma_f64 v[13:14], v[4:5], v[9:10], v[15:16]
	flat_store_dwordx4 v[6:7], v[11:14]
	v_add_co_u32_e32 v6, vcc, s0, v6
	v_addc_co_u32_e32 v7, vcc, v7, v8, vcc
	s_andn2_b64 exec, exec, s[2:3]
	s_cbranch_execnz .LBB18_20
.LBB18_21:
	s_endpgm
.LBB18_22:
                                        ; implicit-def: $vgpr2_vgpr3
	s_and_b64 s[24:25], s[24:25], exec
                                        ; implicit-def: $vgpr7_vgpr8
                                        ; implicit-def: $vgpr9_vgpr10
                                        ; implicit-def: $vgpr5_vgpr6
	s_andn2_saveexec_b64 s[26:27], s[26:27]
	s_cbranch_execnz .LBB18_15
.LBB18_23:
	s_or_b64 exec, exec, s[26:27]
	s_and_saveexec_b64 s[4:5], s[24:25]
	s_cbranch_execz .LBB18_16
.LBB18_24:
	v_mov_b32_e32 v4, 0
	s_waitcnt vmcnt(0) lgkmcnt(0)
	global_store_dwordx2 v4, v[2:3], s[20:21]
	v_mov_b32_e32 v2, 0
	v_mov_b32_e32 v3, 0x3ff00000
	s_or_b64 s[2:3], s[2:3], exec
	s_or_b64 exec, exec, s[4:5]
	s_and_b64 exec, exec, s[2:3]
	s_cbranch_execnz .LBB18_17
	s_branch .LBB18_18
	.section	.rodata,"a",@progbits
	.p2align	6, 0x0
	.amdhsa_kernel _ZN9rocsolver6v33100L18larfg_kernel_smallILi512E19rocblas_complex_numIdEldPKPS3_EEvT1_T3_llPT2_llS8_lS7_lPT0_l
		.amdhsa_group_segment_fixed_size 128
		.amdhsa_private_segment_fixed_size 0
		.amdhsa_kernarg_size 104
		.amdhsa_user_sgpr_count 6
		.amdhsa_user_sgpr_private_segment_buffer 1
		.amdhsa_user_sgpr_dispatch_ptr 0
		.amdhsa_user_sgpr_queue_ptr 0
		.amdhsa_user_sgpr_kernarg_segment_ptr 1
		.amdhsa_user_sgpr_dispatch_id 0
		.amdhsa_user_sgpr_flat_scratch_init 0
		.amdhsa_user_sgpr_private_segment_size 0
		.amdhsa_uses_dynamic_stack 0
		.amdhsa_system_sgpr_private_segment_wavefront_offset 0
		.amdhsa_system_sgpr_workgroup_id_x 1
		.amdhsa_system_sgpr_workgroup_id_y 0
		.amdhsa_system_sgpr_workgroup_id_z 1
		.amdhsa_system_sgpr_workgroup_info 0
		.amdhsa_system_vgpr_workitem_id 0
		.amdhsa_next_free_vgpr 27
		.amdhsa_next_free_sgpr 30
		.amdhsa_reserve_vcc 1
		.amdhsa_reserve_flat_scratch 0
		.amdhsa_float_round_mode_32 0
		.amdhsa_float_round_mode_16_64 0
		.amdhsa_float_denorm_mode_32 3
		.amdhsa_float_denorm_mode_16_64 3
		.amdhsa_dx10_clamp 1
		.amdhsa_ieee_mode 1
		.amdhsa_fp16_overflow 0
		.amdhsa_exception_fp_ieee_invalid_op 0
		.amdhsa_exception_fp_denorm_src 0
		.amdhsa_exception_fp_ieee_div_zero 0
		.amdhsa_exception_fp_ieee_overflow 0
		.amdhsa_exception_fp_ieee_underflow 0
		.amdhsa_exception_fp_ieee_inexact 0
		.amdhsa_exception_int_div_zero 0
	.end_amdhsa_kernel
	.section	.text._ZN9rocsolver6v33100L18larfg_kernel_smallILi512E19rocblas_complex_numIdEldPKPS3_EEvT1_T3_llPT2_llS8_lS7_lPT0_l,"axG",@progbits,_ZN9rocsolver6v33100L18larfg_kernel_smallILi512E19rocblas_complex_numIdEldPKPS3_EEvT1_T3_llPT2_llS8_lS7_lPT0_l,comdat
.Lfunc_end18:
	.size	_ZN9rocsolver6v33100L18larfg_kernel_smallILi512E19rocblas_complex_numIdEldPKPS3_EEvT1_T3_llPT2_llS8_lS7_lPT0_l, .Lfunc_end18-_ZN9rocsolver6v33100L18larfg_kernel_smallILi512E19rocblas_complex_numIdEldPKPS3_EEvT1_T3_llPT2_llS8_lS7_lPT0_l
                                        ; -- End function
	.set _ZN9rocsolver6v33100L18larfg_kernel_smallILi512E19rocblas_complex_numIdEldPKPS3_EEvT1_T3_llPT2_llS8_lS7_lPT0_l.num_vgpr, 27
	.set _ZN9rocsolver6v33100L18larfg_kernel_smallILi512E19rocblas_complex_numIdEldPKPS3_EEvT1_T3_llPT2_llS8_lS7_lPT0_l.num_agpr, 0
	.set _ZN9rocsolver6v33100L18larfg_kernel_smallILi512E19rocblas_complex_numIdEldPKPS3_EEvT1_T3_llPT2_llS8_lS7_lPT0_l.numbered_sgpr, 30
	.set _ZN9rocsolver6v33100L18larfg_kernel_smallILi512E19rocblas_complex_numIdEldPKPS3_EEvT1_T3_llPT2_llS8_lS7_lPT0_l.num_named_barrier, 0
	.set _ZN9rocsolver6v33100L18larfg_kernel_smallILi512E19rocblas_complex_numIdEldPKPS3_EEvT1_T3_llPT2_llS8_lS7_lPT0_l.private_seg_size, 0
	.set _ZN9rocsolver6v33100L18larfg_kernel_smallILi512E19rocblas_complex_numIdEldPKPS3_EEvT1_T3_llPT2_llS8_lS7_lPT0_l.uses_vcc, 1
	.set _ZN9rocsolver6v33100L18larfg_kernel_smallILi512E19rocblas_complex_numIdEldPKPS3_EEvT1_T3_llPT2_llS8_lS7_lPT0_l.uses_flat_scratch, 0
	.set _ZN9rocsolver6v33100L18larfg_kernel_smallILi512E19rocblas_complex_numIdEldPKPS3_EEvT1_T3_llPT2_llS8_lS7_lPT0_l.has_dyn_sized_stack, 0
	.set _ZN9rocsolver6v33100L18larfg_kernel_smallILi512E19rocblas_complex_numIdEldPKPS3_EEvT1_T3_llPT2_llS8_lS7_lPT0_l.has_recursion, 0
	.set _ZN9rocsolver6v33100L18larfg_kernel_smallILi512E19rocblas_complex_numIdEldPKPS3_EEvT1_T3_llPT2_llS8_lS7_lPT0_l.has_indirect_call, 0
	.section	.AMDGPU.csdata,"",@progbits
; Kernel info:
; codeLenInByte = 2268
; TotalNumSgprs: 34
; NumVgprs: 27
; ScratchSize: 0
; MemoryBound: 0
; FloatMode: 240
; IeeeMode: 1
; LDSByteSize: 128 bytes/workgroup (compile time only)
; SGPRBlocks: 4
; VGPRBlocks: 6
; NumSGPRsForWavesPerEU: 34
; NumVGPRsForWavesPerEU: 27
; Occupancy: 9
; WaveLimiterHint : 1
; COMPUTE_PGM_RSRC2:SCRATCH_EN: 0
; COMPUTE_PGM_RSRC2:USER_SGPR: 6
; COMPUTE_PGM_RSRC2:TRAP_HANDLER: 0
; COMPUTE_PGM_RSRC2:TGID_X_EN: 1
; COMPUTE_PGM_RSRC2:TGID_Y_EN: 0
; COMPUTE_PGM_RSRC2:TGID_Z_EN: 1
; COMPUTE_PGM_RSRC2:TIDIG_COMP_CNT: 0
	.section	.text._ZN9rocsolver6v33100L18larfg_kernel_smallILi1024E19rocblas_complex_numIdEldPKPS3_EEvT1_T3_llPT2_llS8_lS7_lPT0_l,"axG",@progbits,_ZN9rocsolver6v33100L18larfg_kernel_smallILi1024E19rocblas_complex_numIdEldPKPS3_EEvT1_T3_llPT2_llS8_lS7_lPT0_l,comdat
	.globl	_ZN9rocsolver6v33100L18larfg_kernel_smallILi1024E19rocblas_complex_numIdEldPKPS3_EEvT1_T3_llPT2_llS8_lS7_lPT0_l ; -- Begin function _ZN9rocsolver6v33100L18larfg_kernel_smallILi1024E19rocblas_complex_numIdEldPKPS3_EEvT1_T3_llPT2_llS8_lS7_lPT0_l
	.p2align	8
	.type	_ZN9rocsolver6v33100L18larfg_kernel_smallILi1024E19rocblas_complex_numIdEldPKPS3_EEvT1_T3_llPT2_llS8_lS7_lPT0_l,@function
_ZN9rocsolver6v33100L18larfg_kernel_smallILi1024E19rocblas_complex_numIdEldPKPS3_EEvT1_T3_llPT2_llS8_lS7_lPT0_l: ; @_ZN9rocsolver6v33100L18larfg_kernel_smallILi1024E19rocblas_complex_numIdEldPKPS3_EEvT1_T3_llPT2_llS8_lS7_lPT0_l
; %bb.0:
	s_mov_b32 s22, s7
	s_load_dwordx4 s[0:3], s[4:5], 0x0
	s_load_dwordx2 s[24:25], s[4:5], 0x10
	s_load_dwordx8 s[8:15], s[4:5], 0x20
	s_load_dwordx4 s[16:19], s[4:5], 0x40
	s_mov_b32 s23, 0
	s_lshl_b64 s[6:7], s[22:23], 3
	s_waitcnt lgkmcnt(0)
	s_add_u32 s2, s2, s6
	s_addc_u32 s3, s3, s7
	s_add_u32 s6, s14, s6
	s_addc_u32 s7, s15, s7
	s_load_dwordx2 s[14:15], s[6:7], 0x0
	s_cmp_eq_u64 s[8:9], 0
	s_mov_b64 s[20:21], 0
	s_cbranch_scc1 .LBB19_2
; %bb.1:
	s_mul_i32 s6, s13, s22
	s_mul_hi_u32 s7, s12, s22
	s_add_i32 s7, s7, s6
	s_mul_i32 s6, s12, s22
	s_lshl_b64 s[6:7], s[6:7], 3
	s_add_u32 s8, s8, s6
	s_addc_u32 s9, s9, s7
	s_lshl_b64 s[6:7], s[10:11], 3
	s_add_u32 s20, s8, s6
	s_addc_u32 s21, s9, s7
.LBB19_2:
	s_load_dwordx2 s[8:9], s[2:3], 0x0
	s_add_u32 s6, s0, -1
	v_mov_b32_e32 v1, 0
	s_addc_u32 s7, s1, -1
	v_cmp_gt_i64_e64 s[0:1], s[6:7], v[0:1]
	v_mov_b32_e32 v2, 0
	v_mov_b32_e32 v4, 0
	;; [unrolled: 1-line block ×4, first 2 shown]
	s_and_saveexec_b64 s[10:11], s[0:1]
	s_cbranch_execz .LBB19_6
; %bb.3:
	v_mad_u64_u32 v[2:3], s[2:3], s18, v0, 0
	s_lshl_b64 s[2:3], s[16:17], 4
	s_waitcnt lgkmcnt(0)
	s_add_u32 s2, s14, s2
	v_mad_u64_u32 v[3:4], s[12:13], s19, v0, v[3:4]
	s_addc_u32 s3, s15, s3
	v_mov_b32_e32 v4, s3
	v_lshlrev_b64 v[2:3], 4, v[2:3]
	s_lshl_b64 s[12:13], s[18:19], 14
	v_add_co_u32_e32 v6, vcc, s2, v2
	v_addc_co_u32_e32 v7, vcc, v4, v3, vcc
	v_mov_b32_e32 v2, 0
	v_mov_b32_e32 v4, 0
	;; [unrolled: 1-line block ×4, first 2 shown]
	s_mov_b64 s[26:27], 0
	v_mov_b32_e32 v10, s13
	v_mov_b32_e32 v5, 0
	;; [unrolled: 1-line block ×3, first 2 shown]
.LBB19_4:                               ; =>This Inner Loop Header: Depth=1
	flat_load_dwordx4 v[11:14], v[6:7]
	v_add_co_u32_e32 v8, vcc, 0x400, v8
	v_addc_co_u32_e32 v9, vcc, 0, v9, vcc
	v_cmp_le_i64_e32 vcc, s[6:7], v[8:9]
	v_add_co_u32_e64 v6, s[2:3], s12, v6
	s_or_b64 s[26:27], vcc, s[26:27]
	v_addc_co_u32_e64 v7, vcc, v7, v10, s[2:3]
	s_waitcnt vmcnt(0) lgkmcnt(0)
	v_mul_f64 v[15:16], v[13:14], v[13:14]
	v_mul_f64 v[17:18], v[11:12], v[13:14]
	v_fma_f64 v[15:16], v[11:12], v[11:12], v[15:16]
	v_fma_f64 v[11:12], v[11:12], v[13:14], -v[17:18]
	v_add_f64 v[4:5], v[4:5], v[15:16]
	v_add_f64 v[2:3], v[2:3], v[11:12]
	s_andn2_b64 exec, exec, s[26:27]
	s_cbranch_execnz .LBB19_4
; %bb.5:
	s_or_b64 exec, exec, s[26:27]
.LBB19_6:
	s_or_b64 exec, exec, s[10:11]
	v_mbcnt_lo_u32_b32 v6, -1, 0
	v_mbcnt_hi_u32_b32 v10, -1, v6
	v_and_b32_e32 v11, 63, v10
	v_cmp_ne_u32_e32 vcc, 63, v11
	v_addc_co_u32_e32 v6, vcc, 0, v10, vcc
	v_lshlrev_b32_e32 v9, 2, v6
	ds_bpermute_b32 v6, v9, v4
	ds_bpermute_b32 v7, v9, v5
	;; [unrolled: 1-line block ×4, first 2 shown]
	v_cmp_gt_u32_e32 vcc, 62, v11
	s_waitcnt lgkmcnt(0)
	v_add_f64 v[4:5], v[4:5], v[6:7]
	v_cndmask_b32_e64 v6, 0, 2, vcc
	v_add_f64 v[2:3], v[2:3], v[8:9]
	v_add_lshl_u32 v9, v6, v10, 2
	v_cmp_gt_u32_e32 vcc, 60, v11
	ds_bpermute_b32 v6, v9, v4
	ds_bpermute_b32 v7, v9, v5
	ds_bpermute_b32 v8, v9, v2
	ds_bpermute_b32 v9, v9, v3
	s_waitcnt lgkmcnt(2)
	v_add_f64 v[4:5], v[4:5], v[6:7]
	v_cndmask_b32_e64 v6, 0, 4, vcc
	s_waitcnt lgkmcnt(0)
	v_add_f64 v[2:3], v[2:3], v[8:9]
	v_add_lshl_u32 v9, v6, v10, 2
	v_cmp_gt_u32_e32 vcc, 56, v11
	ds_bpermute_b32 v6, v9, v4
	ds_bpermute_b32 v7, v9, v5
	ds_bpermute_b32 v8, v9, v2
	ds_bpermute_b32 v9, v9, v3
	s_waitcnt lgkmcnt(2)
	v_add_f64 v[4:5], v[4:5], v[6:7]
	v_cndmask_b32_e64 v6, 0, 8, vcc
	s_waitcnt lgkmcnt(0)
	;; [unrolled: 11-line block ×3, first 2 shown]
	v_add_f64 v[2:3], v[2:3], v[8:9]
	v_add_lshl_u32 v9, v6, v10, 2
	ds_bpermute_b32 v6, v9, v4
	ds_bpermute_b32 v7, v9, v5
	;; [unrolled: 1-line block ×4, first 2 shown]
	s_waitcnt lgkmcnt(2)
	v_add_f64 v[4:5], v[4:5], v[6:7]
	s_waitcnt lgkmcnt(0)
	v_add_f64 v[6:7], v[2:3], v[8:9]
	v_mov_b32_e32 v2, 0x80
	v_lshl_or_b32 v9, v10, 2, v2
	ds_bpermute_b32 v2, v9, v4
	ds_bpermute_b32 v3, v9, v5
	;; [unrolled: 1-line block ×4, first 2 shown]
	s_waitcnt lgkmcnt(2)
	v_add_f64 v[2:3], v[4:5], v[2:3]
	s_waitcnt lgkmcnt(0)
	v_add_f64 v[4:5], v[6:7], v[8:9]
	v_and_b32_e32 v6, 63, v0
	v_cmp_eq_u32_e32 vcc, 0, v6
	s_and_saveexec_b64 s[2:3], vcc
; %bb.7:
	v_lshrrev_b32_e32 v6, 2, v0
	ds_write_b128 v6, v[2:5]
; %bb.8:
	s_or_b64 exec, exec, s[2:3]
	v_cmp_eq_u32_e32 vcc, 0, v0
	s_waitcnt lgkmcnt(0)
	s_barrier
	s_and_saveexec_b64 s[2:3], vcc
	s_cbranch_execz .LBB19_10
; %bb.9:
	v_mov_b32_e32 v14, 0
	ds_read_b128 v[6:9], v14 offset:16
	ds_read_b128 v[10:13], v14 offset:32
	s_waitcnt lgkmcnt(1)
	v_add_f64 v[2:3], v[2:3], v[6:7]
	v_add_f64 v[4:5], v[4:5], v[8:9]
	s_waitcnt lgkmcnt(0)
	v_add_f64 v[10:11], v[2:3], v[10:11]
	v_add_f64 v[12:13], v[4:5], v[12:13]
	ds_read_b128 v[2:5], v14 offset:48
	ds_read_b128 v[6:9], v14 offset:64
	s_waitcnt lgkmcnt(1)
	v_add_f64 v[2:3], v[10:11], v[2:3]
	v_add_f64 v[4:5], v[12:13], v[4:5]
	s_waitcnt lgkmcnt(0)
	v_add_f64 v[10:11], v[2:3], v[6:7]
	v_add_f64 v[12:13], v[4:5], v[8:9]
	;; [unrolled: 8-line block ×7, first 2 shown]
	ds_read_b128 v[2:5], v14 offset:240
	s_waitcnt lgkmcnt(0)
	v_add_f64 v[2:3], v[6:7], v[2:3]
	v_add_f64 v[4:5], v[8:9], v[4:5]
	ds_write_b128 v14, v[2:5]
.LBB19_10:
	s_or_b64 exec, exec, s[2:3]
	s_waitcnt lgkmcnt(0)
	s_barrier
	s_and_saveexec_b64 s[10:11], vcc
	s_cbranch_execz .LBB19_18
; %bb.11:
	s_lshl_b64 s[2:3], s[24:25], 4
	s_add_u32 s8, s8, s2
	s_addc_u32 s9, s9, s3
	v_mov_b32_e32 v2, s8
	v_mov_b32_e32 v3, s9
	flat_load_dwordx2 v[5:6], v[2:3] offset:8
	v_mov_b32_e32 v4, 0
	ds_read_b64 v[9:10], v4
	s_load_dwordx4 s[24:27], s[4:5], 0x58
	s_waitcnt lgkmcnt(0)
	v_max_f64 v[2:3], v[9:10], v[9:10]
	s_mul_i32 s2, s27, s22
	s_mul_hi_u32 s3, s26, s22
	s_add_i32 s3, s3, s2
	s_mul_i32 s2, s26, s22
	s_lshl_b64 s[2:3], s[2:3], 4
	s_add_u32 s4, s24, s2
	s_addc_u32 s5, s25, s3
	s_cmp_eq_u64 s[20:21], 0
	s_cselect_b64 s[22:23], -1, 0
	s_cmp_lg_u64 s[20:21], 0
	s_mov_b64 s[2:3], 0
	s_cselect_b64 s[12:13], -1, 0
	s_mov_b64 s[24:25], 0
	s_waitcnt vmcnt(0)
	v_mul_f64 v[7:8], v[5:6], v[5:6]
	v_max_f64 v[2:3], v[2:3], v[7:8]
	v_cmp_nlt_f64_e32 vcc, 0, v[2:3]
                                        ; implicit-def: $vgpr2_vgpr3
	s_and_saveexec_b64 s[26:27], vcc
	s_xor_b64 s[26:27], exec, s[26:27]
	s_cbranch_execz .LBB19_14
; %bb.12:
	v_mov_b32_e32 v5, 0x3ff00000
	v_mov_b32_e32 v6, v4
	;; [unrolled: 1-line block ×3, first 2 shown]
	ds_write_b128 v4, v[4:7]
	v_mov_b32_e32 v5, v4
	s_and_b64 vcc, exec, s[12:13]
	global_store_dwordx4 v4, v[4:7], s[4:5]
	s_cbranch_vccz .LBB19_22
; %bb.13:
	v_mov_b32_e32 v2, s8
	v_mov_b32_e32 v3, s9
	flat_load_dwordx2 v[2:3], v[2:3]
	s_mov_b64 s[24:25], -1
	s_and_b64 s[24:25], s[24:25], exec
                                        ; implicit-def: $vgpr7_vgpr8
                                        ; implicit-def: $vgpr9_vgpr10
                                        ; implicit-def: $vgpr5_vgpr6
	s_andn2_saveexec_b64 s[26:27], s[26:27]
	s_cbranch_execz .LBB19_23
	s_branch .LBB19_15
.LBB19_14:
	s_andn2_saveexec_b64 s[26:27], s[26:27]
	s_cbranch_execz .LBB19_23
.LBB19_15:
	s_waitcnt vmcnt(0) lgkmcnt(0)
	v_mov_b32_e32 v2, s8
	v_mov_b32_e32 v3, s9
	flat_load_dwordx2 v[11:12], v[2:3]
	s_mov_b32 s2, 0
	s_brev_b32 s3, 8
	v_mov_b32_e32 v4, 0x100
	s_and_b64 s[12:13], s[12:13], exec
	s_waitcnt vmcnt(0) lgkmcnt(0)
	v_fma_f64 v[2:3], v[11:12], v[11:12], v[7:8]
	v_add_f64 v[2:3], v[9:10], v[2:3]
	v_cmp_gt_f64_e32 vcc, s[2:3], v[2:3]
	v_cndmask_b32_e32 v4, 0, v4, vcc
	v_ldexp_f64 v[2:3], v[2:3], v4
	v_mov_b32_e32 v4, 0xffffff80
	v_cndmask_b32_e32 v4, 0, v4, vcc
	v_rsq_f64_e32 v[9:10], v[2:3]
	v_mul_f64 v[13:14], v[2:3], v[9:10]
	v_mul_f64 v[9:10], v[9:10], 0.5
	v_fma_f64 v[15:16], -v[9:10], v[13:14], 0.5
	v_fma_f64 v[13:14], v[13:14], v[15:16], v[13:14]
	v_fma_f64 v[9:10], v[9:10], v[15:16], v[9:10]
	v_fma_f64 v[15:16], -v[13:14], v[13:14], v[2:3]
	v_fma_f64 v[13:14], v[15:16], v[9:10], v[13:14]
	v_fma_f64 v[15:16], -v[13:14], v[13:14], v[2:3]
	v_fma_f64 v[9:10], v[15:16], v[9:10], v[13:14]
	v_mov_b32_e32 v13, 0x260
	v_cmp_class_f64_e32 vcc, v[2:3], v13
	v_ldexp_f64 v[9:10], v[9:10], v4
	v_cndmask_b32_e32 v3, v10, v3, vcc
	v_cndmask_b32_e32 v2, v9, v2, vcc
	v_cmp_le_f64_e32 vcc, 0, v[11:12]
	v_xor_b32_e32 v4, 0x80000000, v3
	v_cndmask_b32_e32 v3, v3, v4, vcc
	v_add_f64 v[9:10], v[11:12], -v[2:3]
	v_add_f64 v[11:12], v[2:3], -v[11:12]
	v_mov_b32_e32 v4, 0
	v_fma_f64 v[13:14], v[9:10], v[9:10], v[7:8]
	v_div_scale_f64 v[7:8], s[2:3], v[13:14], v[13:14], v[9:10]
	v_div_scale_f64 v[15:16], s[2:3], v[13:14], v[13:14], -v[5:6]
	v_rcp_f64_e32 v[17:18], v[7:8]
	v_rcp_f64_e32 v[19:20], v[15:16]
	v_fma_f64 v[21:22], -v[7:8], v[17:18], 1.0
	v_fma_f64 v[23:24], -v[15:16], v[19:20], 1.0
	v_fma_f64 v[17:18], v[17:18], v[21:22], v[17:18]
	v_fma_f64 v[19:20], v[19:20], v[23:24], v[19:20]
	v_div_scale_f64 v[23:24], vcc, v[9:10], v[13:14], v[9:10]
	v_fma_f64 v[21:22], -v[7:8], v[17:18], 1.0
	v_fma_f64 v[17:18], v[17:18], v[21:22], v[17:18]
	v_fma_f64 v[21:22], -v[15:16], v[19:20], 1.0
	v_fma_f64 v[19:20], v[19:20], v[21:22], v[19:20]
	v_mul_f64 v[21:22], v[23:24], v[17:18]
	v_fma_f64 v[7:8], -v[7:8], v[21:22], v[23:24]
	v_div_scale_f64 v[23:24], s[2:3], -v[5:6], v[13:14], -v[5:6]
	v_div_fmas_f64 v[7:8], v[7:8], v[17:18], v[21:22]
	v_div_scale_f64 v[17:18], s[28:29], v[2:3], v[2:3], v[11:12]
	s_mov_b64 vcc, s[2:3]
	v_mul_f64 v[21:22], v[23:24], v[19:20]
	v_div_fixup_f64 v[7:8], v[7:8], v[13:14], v[9:10]
	v_fma_f64 v[15:16], -v[15:16], v[21:22], v[23:24]
	v_rcp_f64_e32 v[23:24], v[17:18]
	v_div_fmas_f64 v[15:16], v[15:16], v[19:20], v[21:22]
	v_div_scale_f64 v[19:20], vcc, v[11:12], v[2:3], v[11:12]
	v_fma_f64 v[25:26], -v[17:18], v[23:24], 1.0
	v_div_fixup_f64 v[9:10], v[15:16], v[13:14], -v[5:6]
	v_fma_f64 v[23:24], v[23:24], v[25:26], v[23:24]
	ds_write_b128 v4, v[7:10]
	v_fma_f64 v[21:22], -v[17:18], v[23:24], 1.0
	v_fma_f64 v[21:22], v[23:24], v[21:22], v[23:24]
	v_mul_f64 v[23:24], v[19:20], v[21:22]
	v_fma_f64 v[17:18], -v[17:18], v[23:24], v[19:20]
	v_div_scale_f64 v[19:20], s[2:3], v[2:3], v[2:3], -v[5:6]
	s_and_b64 s[2:3], s[22:23], exec
	s_andn2_b64 s[22:23], s[24:25], exec
	s_or_b64 s[24:25], s[22:23], s[12:13]
	v_div_fmas_f64 v[17:18], v[17:18], v[21:22], v[23:24]
	v_rcp_f64_e32 v[21:22], v[19:20]
	v_div_fixup_f64 v[11:12], v[17:18], v[2:3], v[11:12]
	v_fma_f64 v[23:24], -v[19:20], v[21:22], 1.0
	v_fma_f64 v[21:22], v[21:22], v[23:24], v[21:22]
	v_fma_f64 v[23:24], -v[19:20], v[21:22], 1.0
	v_fma_f64 v[21:22], v[21:22], v[23:24], v[21:22]
	v_div_scale_f64 v[23:24], vcc, -v[5:6], v[2:3], -v[5:6]
	v_mul_f64 v[25:26], v[23:24], v[21:22]
	v_fma_f64 v[19:20], -v[19:20], v[25:26], v[23:24]
	s_nop 1
	v_div_fmas_f64 v[19:20], v[19:20], v[21:22], v[25:26]
	v_div_fixup_f64 v[13:14], v[19:20], v[2:3], -v[5:6]
	global_store_dwordx4 v4, v[11:14], s[4:5]
	s_or_b64 exec, exec, s[26:27]
	s_and_saveexec_b64 s[4:5], s[24:25]
	s_cbranch_execnz .LBB19_24
.LBB19_16:
	s_or_b64 exec, exec, s[4:5]
	s_and_b64 exec, exec, s[2:3]
	s_cbranch_execz .LBB19_18
.LBB19_17:
	v_mov_b32_e32 v4, 0
	v_mov_b32_e32 v6, s8
	;; [unrolled: 1-line block ×4, first 2 shown]
	s_waitcnt vmcnt(0) lgkmcnt(0)
	flat_store_dwordx4 v[6:7], v[2:5]
.LBB19_18:
	s_or_b64 exec, exec, s[10:11]
	s_waitcnt vmcnt(0) lgkmcnt(0)
	s_barrier
	s_and_saveexec_b64 s[2:3], s[0:1]
	s_cbranch_execz .LBB19_21
; %bb.19:
	v_mad_u64_u32 v[6:7], s[0:1], s18, v0, 0
	v_mov_b32_e32 v3, 0
	s_mov_b64 s[2:3], 0
	v_mov_b32_e32 v2, v7
	v_mad_u64_u32 v[7:8], s[0:1], s19, v0, v[2:3]
	s_lshl_b64 s[0:1], s[16:17], 4
	ds_read_b128 v[2:5], v3
	s_add_u32 s0, s14, s0
	v_lshlrev_b64 v[6:7], 4, v[6:7]
	s_addc_u32 s1, s15, s1
	v_mov_b32_e32 v8, s1
	v_add_co_u32_e32 v6, vcc, s0, v6
	s_lshl_b64 s[0:1], s[18:19], 14
	v_addc_co_u32_e32 v7, vcc, v8, v7, vcc
	v_mov_b32_e32 v8, s1
.LBB19_20:                              ; =>This Inner Loop Header: Depth=1
	flat_load_dwordx4 v[9:12], v[6:7]
	v_add_co_u32_e32 v0, vcc, 0x400, v0
	v_addc_co_u32_e32 v1, vcc, 0, v1, vcc
	v_cmp_le_i64_e32 vcc, s[6:7], v[0:1]
	s_or_b64 s[2:3], vcc, s[2:3]
	s_waitcnt vmcnt(0) lgkmcnt(0)
	v_mul_f64 v[13:14], v[4:5], v[11:12]
	v_mul_f64 v[15:16], v[2:3], v[11:12]
	v_fma_f64 v[11:12], v[2:3], v[9:10], -v[13:14]
	v_fma_f64 v[13:14], v[4:5], v[9:10], v[15:16]
	flat_store_dwordx4 v[6:7], v[11:14]
	v_add_co_u32_e32 v6, vcc, s0, v6
	v_addc_co_u32_e32 v7, vcc, v7, v8, vcc
	s_andn2_b64 exec, exec, s[2:3]
	s_cbranch_execnz .LBB19_20
.LBB19_21:
	s_endpgm
.LBB19_22:
                                        ; implicit-def: $vgpr2_vgpr3
	s_and_b64 s[24:25], s[24:25], exec
                                        ; implicit-def: $vgpr7_vgpr8
                                        ; implicit-def: $vgpr9_vgpr10
                                        ; implicit-def: $vgpr5_vgpr6
	s_andn2_saveexec_b64 s[26:27], s[26:27]
	s_cbranch_execnz .LBB19_15
.LBB19_23:
	s_or_b64 exec, exec, s[26:27]
	s_and_saveexec_b64 s[4:5], s[24:25]
	s_cbranch_execz .LBB19_16
.LBB19_24:
	v_mov_b32_e32 v4, 0
	s_waitcnt vmcnt(0) lgkmcnt(0)
	global_store_dwordx2 v4, v[2:3], s[20:21]
	v_mov_b32_e32 v2, 0
	v_mov_b32_e32 v3, 0x3ff00000
	s_or_b64 s[2:3], s[2:3], exec
	s_or_b64 exec, exec, s[4:5]
	s_and_b64 exec, exec, s[2:3]
	s_cbranch_execnz .LBB19_17
	s_branch .LBB19_18
	.section	.rodata,"a",@progbits
	.p2align	6, 0x0
	.amdhsa_kernel _ZN9rocsolver6v33100L18larfg_kernel_smallILi1024E19rocblas_complex_numIdEldPKPS3_EEvT1_T3_llPT2_llS8_lS7_lPT0_l
		.amdhsa_group_segment_fixed_size 256
		.amdhsa_private_segment_fixed_size 0
		.amdhsa_kernarg_size 104
		.amdhsa_user_sgpr_count 6
		.amdhsa_user_sgpr_private_segment_buffer 1
		.amdhsa_user_sgpr_dispatch_ptr 0
		.amdhsa_user_sgpr_queue_ptr 0
		.amdhsa_user_sgpr_kernarg_segment_ptr 1
		.amdhsa_user_sgpr_dispatch_id 0
		.amdhsa_user_sgpr_flat_scratch_init 0
		.amdhsa_user_sgpr_private_segment_size 0
		.amdhsa_uses_dynamic_stack 0
		.amdhsa_system_sgpr_private_segment_wavefront_offset 0
		.amdhsa_system_sgpr_workgroup_id_x 1
		.amdhsa_system_sgpr_workgroup_id_y 0
		.amdhsa_system_sgpr_workgroup_id_z 1
		.amdhsa_system_sgpr_workgroup_info 0
		.amdhsa_system_vgpr_workitem_id 0
		.amdhsa_next_free_vgpr 27
		.amdhsa_next_free_sgpr 30
		.amdhsa_reserve_vcc 1
		.amdhsa_reserve_flat_scratch 0
		.amdhsa_float_round_mode_32 0
		.amdhsa_float_round_mode_16_64 0
		.amdhsa_float_denorm_mode_32 3
		.amdhsa_float_denorm_mode_16_64 3
		.amdhsa_dx10_clamp 1
		.amdhsa_ieee_mode 1
		.amdhsa_fp16_overflow 0
		.amdhsa_exception_fp_ieee_invalid_op 0
		.amdhsa_exception_fp_denorm_src 0
		.amdhsa_exception_fp_ieee_div_zero 0
		.amdhsa_exception_fp_ieee_overflow 0
		.amdhsa_exception_fp_ieee_underflow 0
		.amdhsa_exception_fp_ieee_inexact 0
		.amdhsa_exception_int_div_zero 0
	.end_amdhsa_kernel
	.section	.text._ZN9rocsolver6v33100L18larfg_kernel_smallILi1024E19rocblas_complex_numIdEldPKPS3_EEvT1_T3_llPT2_llS8_lS7_lPT0_l,"axG",@progbits,_ZN9rocsolver6v33100L18larfg_kernel_smallILi1024E19rocblas_complex_numIdEldPKPS3_EEvT1_T3_llPT2_llS8_lS7_lPT0_l,comdat
.Lfunc_end19:
	.size	_ZN9rocsolver6v33100L18larfg_kernel_smallILi1024E19rocblas_complex_numIdEldPKPS3_EEvT1_T3_llPT2_llS8_lS7_lPT0_l, .Lfunc_end19-_ZN9rocsolver6v33100L18larfg_kernel_smallILi1024E19rocblas_complex_numIdEldPKPS3_EEvT1_T3_llPT2_llS8_lS7_lPT0_l
                                        ; -- End function
	.set _ZN9rocsolver6v33100L18larfg_kernel_smallILi1024E19rocblas_complex_numIdEldPKPS3_EEvT1_T3_llPT2_llS8_lS7_lPT0_l.num_vgpr, 27
	.set _ZN9rocsolver6v33100L18larfg_kernel_smallILi1024E19rocblas_complex_numIdEldPKPS3_EEvT1_T3_llPT2_llS8_lS7_lPT0_l.num_agpr, 0
	.set _ZN9rocsolver6v33100L18larfg_kernel_smallILi1024E19rocblas_complex_numIdEldPKPS3_EEvT1_T3_llPT2_llS8_lS7_lPT0_l.numbered_sgpr, 30
	.set _ZN9rocsolver6v33100L18larfg_kernel_smallILi1024E19rocblas_complex_numIdEldPKPS3_EEvT1_T3_llPT2_llS8_lS7_lPT0_l.num_named_barrier, 0
	.set _ZN9rocsolver6v33100L18larfg_kernel_smallILi1024E19rocblas_complex_numIdEldPKPS3_EEvT1_T3_llPT2_llS8_lS7_lPT0_l.private_seg_size, 0
	.set _ZN9rocsolver6v33100L18larfg_kernel_smallILi1024E19rocblas_complex_numIdEldPKPS3_EEvT1_T3_llPT2_llS8_lS7_lPT0_l.uses_vcc, 1
	.set _ZN9rocsolver6v33100L18larfg_kernel_smallILi1024E19rocblas_complex_numIdEldPKPS3_EEvT1_T3_llPT2_llS8_lS7_lPT0_l.uses_flat_scratch, 0
	.set _ZN9rocsolver6v33100L18larfg_kernel_smallILi1024E19rocblas_complex_numIdEldPKPS3_EEvT1_T3_llPT2_llS8_lS7_lPT0_l.has_dyn_sized_stack, 0
	.set _ZN9rocsolver6v33100L18larfg_kernel_smallILi1024E19rocblas_complex_numIdEldPKPS3_EEvT1_T3_llPT2_llS8_lS7_lPT0_l.has_recursion, 0
	.set _ZN9rocsolver6v33100L18larfg_kernel_smallILi1024E19rocblas_complex_numIdEldPKPS3_EEvT1_T3_llPT2_llS8_lS7_lPT0_l.has_indirect_call, 0
	.section	.AMDGPU.csdata,"",@progbits
; Kernel info:
; codeLenInByte = 2492
; TotalNumSgprs: 34
; NumVgprs: 27
; ScratchSize: 0
; MemoryBound: 0
; FloatMode: 240
; IeeeMode: 1
; LDSByteSize: 256 bytes/workgroup (compile time only)
; SGPRBlocks: 4
; VGPRBlocks: 6
; NumSGPRsForWavesPerEU: 34
; NumVGPRsForWavesPerEU: 27
; Occupancy: 9
; WaveLimiterHint : 1
; COMPUTE_PGM_RSRC2:SCRATCH_EN: 0
; COMPUTE_PGM_RSRC2:USER_SGPR: 6
; COMPUTE_PGM_RSRC2:TRAP_HANDLER: 0
; COMPUTE_PGM_RSRC2:TGID_X_EN: 1
; COMPUTE_PGM_RSRC2:TGID_Y_EN: 0
; COMPUTE_PGM_RSRC2:TGID_Z_EN: 1
; COMPUTE_PGM_RSRC2:TIDIG_COMP_CNT: 0
	.section	.AMDGPU.gpr_maximums,"",@progbits
	.set amdgpu.max_num_vgpr, 0
	.set amdgpu.max_num_agpr, 0
	.set amdgpu.max_num_sgpr, 0
	.section	.AMDGPU.csdata,"",@progbits
	.type	__hip_cuid_5b1a7b604375fcdd,@object ; @__hip_cuid_5b1a7b604375fcdd
	.section	.bss,"aw",@nobits
	.globl	__hip_cuid_5b1a7b604375fcdd
__hip_cuid_5b1a7b604375fcdd:
	.byte	0                               ; 0x0
	.size	__hip_cuid_5b1a7b604375fcdd, 1

	.ident	"AMD clang version 22.0.0git (https://github.com/RadeonOpenCompute/llvm-project roc-7.2.4 26084 f58b06dce1f9c15707c5f808fd002e18c2accf7e)"
	.section	".note.GNU-stack","",@progbits
	.addrsig
	.addrsig_sym __hip_cuid_5b1a7b604375fcdd
	.amdgpu_metadata
---
amdhsa.kernels:
  - .args:
      - .offset:         0
        .size:           4
        .value_kind:     by_value
      - .address_space:  global
        .offset:         8
        .size:           8
        .value_kind:     global_buffer
      - .offset:         16
        .size:           8
        .value_kind:     by_value
      - .offset:         24
        .size:           8
        .value_kind:     by_value
      - .address_space:  global
        .offset:         32
        .size:           8
        .value_kind:     global_buffer
      - .offset:         40
        .size:           8
        .value_kind:     by_value
      - .offset:         48
        .size:           8
        .value_kind:     by_value
      - .address_space:  global
        .offset:         56
        .size:           8
        .value_kind:     global_buffer
      - .offset:         64
        .size:           8
        .value_kind:     by_value
      - .offset:         72
        .size:           4
        .value_kind:     by_value
      - .offset:         80
        .size:           8
        .value_kind:     by_value
      - .address_space:  global
        .offset:         88
        .size:           8
        .value_kind:     global_buffer
      - .offset:         96
        .size:           8
        .value_kind:     by_value
    .group_segment_fixed_size: 16
    .kernarg_segment_align: 8
    .kernarg_segment_size: 104
    .language:       OpenCL C
    .language_version:
      - 2
      - 0
    .max_flat_workgroup_size: 64
    .name:           _ZN9rocsolver6v33100L18larfg_kernel_smallILi64E19rocblas_complex_numIdEidPS3_EEvT1_T3_llPT2_llS6_lS5_lPT0_l
    .private_segment_fixed_size: 0
    .sgpr_count:     31
    .sgpr_spill_count: 0
    .symbol:         _ZN9rocsolver6v33100L18larfg_kernel_smallILi64E19rocblas_complex_numIdEidPS3_EEvT1_T3_llPT2_llS6_lS5_lPT0_l.kd
    .uniform_work_group_size: 1
    .uses_dynamic_stack: false
    .vgpr_count:     25
    .vgpr_spill_count: 0
    .wavefront_size: 64
  - .args:
      - .offset:         0
        .size:           4
        .value_kind:     by_value
      - .address_space:  global
        .offset:         8
        .size:           8
        .value_kind:     global_buffer
      - .offset:         16
        .size:           8
        .value_kind:     by_value
      - .offset:         24
        .size:           8
        .value_kind:     by_value
      - .address_space:  global
        .offset:         32
        .size:           8
        .value_kind:     global_buffer
      - .offset:         40
        .size:           8
        .value_kind:     by_value
      - .offset:         48
        .size:           8
        .value_kind:     by_value
      - .address_space:  global
        .offset:         56
        .size:           8
        .value_kind:     global_buffer
      - .offset:         64
        .size:           8
        .value_kind:     by_value
      - .offset:         72
        .size:           4
        .value_kind:     by_value
      - .offset:         80
        .size:           8
        .value_kind:     by_value
      - .address_space:  global
        .offset:         88
        .size:           8
        .value_kind:     global_buffer
      - .offset:         96
        .size:           8
        .value_kind:     by_value
    .group_segment_fixed_size: 32
    .kernarg_segment_align: 8
    .kernarg_segment_size: 104
    .language:       OpenCL C
    .language_version:
      - 2
      - 0
    .max_flat_workgroup_size: 128
    .name:           _ZN9rocsolver6v33100L18larfg_kernel_smallILi128E19rocblas_complex_numIdEidPS3_EEvT1_T3_llPT2_llS6_lS5_lPT0_l
    .private_segment_fixed_size: 0
    .sgpr_count:     31
    .sgpr_spill_count: 0
    .symbol:         _ZN9rocsolver6v33100L18larfg_kernel_smallILi128E19rocblas_complex_numIdEidPS3_EEvT1_T3_llPT2_llS6_lS5_lPT0_l.kd
    .uniform_work_group_size: 1
    .uses_dynamic_stack: false
    .vgpr_count:     25
    .vgpr_spill_count: 0
    .wavefront_size: 64
  - .args:
      - .offset:         0
        .size:           4
        .value_kind:     by_value
      - .address_space:  global
        .offset:         8
        .size:           8
        .value_kind:     global_buffer
      - .offset:         16
        .size:           8
        .value_kind:     by_value
      - .offset:         24
        .size:           8
        .value_kind:     by_value
      - .address_space:  global
        .offset:         32
        .size:           8
        .value_kind:     global_buffer
      - .offset:         40
        .size:           8
        .value_kind:     by_value
      - .offset:         48
        .size:           8
        .value_kind:     by_value
      - .address_space:  global
        .offset:         56
        .size:           8
        .value_kind:     global_buffer
      - .offset:         64
        .size:           8
        .value_kind:     by_value
      - .offset:         72
        .size:           4
        .value_kind:     by_value
      - .offset:         80
        .size:           8
        .value_kind:     by_value
      - .address_space:  global
        .offset:         88
        .size:           8
        .value_kind:     global_buffer
      - .offset:         96
        .size:           8
        .value_kind:     by_value
    .group_segment_fixed_size: 64
    .kernarg_segment_align: 8
    .kernarg_segment_size: 104
    .language:       OpenCL C
    .language_version:
      - 2
      - 0
    .max_flat_workgroup_size: 256
    .name:           _ZN9rocsolver6v33100L18larfg_kernel_smallILi256E19rocblas_complex_numIdEidPS3_EEvT1_T3_llPT2_llS6_lS5_lPT0_l
    .private_segment_fixed_size: 0
    .sgpr_count:     31
    .sgpr_spill_count: 0
    .symbol:         _ZN9rocsolver6v33100L18larfg_kernel_smallILi256E19rocblas_complex_numIdEidPS3_EEvT1_T3_llPT2_llS6_lS5_lPT0_l.kd
    .uniform_work_group_size: 1
    .uses_dynamic_stack: false
    .vgpr_count:     25
    .vgpr_spill_count: 0
    .wavefront_size: 64
  - .args:
      - .offset:         0
        .size:           4
        .value_kind:     by_value
      - .address_space:  global
        .offset:         8
        .size:           8
        .value_kind:     global_buffer
      - .offset:         16
        .size:           8
        .value_kind:     by_value
      - .offset:         24
        .size:           8
        .value_kind:     by_value
      - .address_space:  global
        .offset:         32
        .size:           8
        .value_kind:     global_buffer
      - .offset:         40
        .size:           8
        .value_kind:     by_value
      - .offset:         48
        .size:           8
        .value_kind:     by_value
      - .address_space:  global
        .offset:         56
        .size:           8
        .value_kind:     global_buffer
      - .offset:         64
        .size:           8
        .value_kind:     by_value
      - .offset:         72
        .size:           4
        .value_kind:     by_value
      - .offset:         80
        .size:           8
        .value_kind:     by_value
      - .address_space:  global
        .offset:         88
        .size:           8
        .value_kind:     global_buffer
      - .offset:         96
        .size:           8
        .value_kind:     by_value
    .group_segment_fixed_size: 128
    .kernarg_segment_align: 8
    .kernarg_segment_size: 104
    .language:       OpenCL C
    .language_version:
      - 2
      - 0
    .max_flat_workgroup_size: 512
    .name:           _ZN9rocsolver6v33100L18larfg_kernel_smallILi512E19rocblas_complex_numIdEidPS3_EEvT1_T3_llPT2_llS6_lS5_lPT0_l
    .private_segment_fixed_size: 0
    .sgpr_count:     31
    .sgpr_spill_count: 0
    .symbol:         _ZN9rocsolver6v33100L18larfg_kernel_smallILi512E19rocblas_complex_numIdEidPS3_EEvT1_T3_llPT2_llS6_lS5_lPT0_l.kd
    .uniform_work_group_size: 1
    .uses_dynamic_stack: false
    .vgpr_count:     25
    .vgpr_spill_count: 0
    .wavefront_size: 64
  - .args:
      - .offset:         0
        .size:           4
        .value_kind:     by_value
      - .address_space:  global
        .offset:         8
        .size:           8
        .value_kind:     global_buffer
      - .offset:         16
        .size:           8
        .value_kind:     by_value
      - .offset:         24
        .size:           8
        .value_kind:     by_value
      - .address_space:  global
        .offset:         32
        .size:           8
        .value_kind:     global_buffer
      - .offset:         40
        .size:           8
        .value_kind:     by_value
      - .offset:         48
        .size:           8
        .value_kind:     by_value
      - .address_space:  global
        .offset:         56
        .size:           8
        .value_kind:     global_buffer
      - .offset:         64
        .size:           8
        .value_kind:     by_value
      - .offset:         72
        .size:           4
        .value_kind:     by_value
      - .offset:         80
        .size:           8
        .value_kind:     by_value
      - .address_space:  global
        .offset:         88
        .size:           8
        .value_kind:     global_buffer
      - .offset:         96
        .size:           8
        .value_kind:     by_value
    .group_segment_fixed_size: 256
    .kernarg_segment_align: 8
    .kernarg_segment_size: 104
    .language:       OpenCL C
    .language_version:
      - 2
      - 0
    .max_flat_workgroup_size: 1024
    .name:           _ZN9rocsolver6v33100L18larfg_kernel_smallILi1024E19rocblas_complex_numIdEidPS3_EEvT1_T3_llPT2_llS6_lS5_lPT0_l
    .private_segment_fixed_size: 0
    .sgpr_count:     31
    .sgpr_spill_count: 0
    .symbol:         _ZN9rocsolver6v33100L18larfg_kernel_smallILi1024E19rocblas_complex_numIdEidPS3_EEvT1_T3_llPT2_llS6_lS5_lPT0_l.kd
    .uniform_work_group_size: 1
    .uses_dynamic_stack: false
    .vgpr_count:     26
    .vgpr_spill_count: 0
    .wavefront_size: 64
  - .args:
      - .offset:         0
        .size:           4
        .value_kind:     by_value
      - .address_space:  global
        .offset:         8
        .size:           8
        .value_kind:     global_buffer
      - .offset:         16
        .size:           8
        .value_kind:     by_value
      - .offset:         24
        .size:           8
        .value_kind:     by_value
      - .address_space:  global
        .offset:         32
        .size:           8
        .value_kind:     global_buffer
      - .offset:         40
        .size:           8
        .value_kind:     by_value
      - .offset:         48
        .size:           8
        .value_kind:     by_value
      - .address_space:  global
        .offset:         56
        .size:           8
        .value_kind:     global_buffer
      - .offset:         64
        .size:           8
        .value_kind:     by_value
      - .offset:         72
        .size:           4
        .value_kind:     by_value
      - .offset:         80
        .size:           8
        .value_kind:     by_value
      - .address_space:  global
        .offset:         88
        .size:           8
        .value_kind:     global_buffer
      - .offset:         96
        .size:           8
        .value_kind:     by_value
    .group_segment_fixed_size: 16
    .kernarg_segment_align: 8
    .kernarg_segment_size: 104
    .language:       OpenCL C
    .language_version:
      - 2
      - 0
    .max_flat_workgroup_size: 64
    .name:           _ZN9rocsolver6v33100L18larfg_kernel_smallILi64E19rocblas_complex_numIdEidPKPS3_EEvT1_T3_llPT2_llS8_lS7_lPT0_l
    .private_segment_fixed_size: 0
    .sgpr_count:     30
    .sgpr_spill_count: 0
    .symbol:         _ZN9rocsolver6v33100L18larfg_kernel_smallILi64E19rocblas_complex_numIdEidPKPS3_EEvT1_T3_llPT2_llS8_lS7_lPT0_l.kd
    .uniform_work_group_size: 1
    .uses_dynamic_stack: false
    .vgpr_count:     28
    .vgpr_spill_count: 0
    .wavefront_size: 64
  - .args:
      - .offset:         0
        .size:           4
        .value_kind:     by_value
      - .address_space:  global
        .offset:         8
        .size:           8
        .value_kind:     global_buffer
      - .offset:         16
        .size:           8
        .value_kind:     by_value
      - .offset:         24
        .size:           8
        .value_kind:     by_value
      - .address_space:  global
        .offset:         32
        .size:           8
        .value_kind:     global_buffer
      - .offset:         40
        .size:           8
        .value_kind:     by_value
      - .offset:         48
        .size:           8
        .value_kind:     by_value
      - .address_space:  global
        .offset:         56
        .size:           8
        .value_kind:     global_buffer
      - .offset:         64
        .size:           8
        .value_kind:     by_value
      - .offset:         72
        .size:           4
        .value_kind:     by_value
      - .offset:         80
        .size:           8
        .value_kind:     by_value
      - .address_space:  global
        .offset:         88
        .size:           8
        .value_kind:     global_buffer
      - .offset:         96
        .size:           8
        .value_kind:     by_value
    .group_segment_fixed_size: 32
    .kernarg_segment_align: 8
    .kernarg_segment_size: 104
    .language:       OpenCL C
    .language_version:
      - 2
      - 0
    .max_flat_workgroup_size: 128
    .name:           _ZN9rocsolver6v33100L18larfg_kernel_smallILi128E19rocblas_complex_numIdEidPKPS3_EEvT1_T3_llPT2_llS8_lS7_lPT0_l
    .private_segment_fixed_size: 0
    .sgpr_count:     30
    .sgpr_spill_count: 0
    .symbol:         _ZN9rocsolver6v33100L18larfg_kernel_smallILi128E19rocblas_complex_numIdEidPKPS3_EEvT1_T3_llPT2_llS8_lS7_lPT0_l.kd
    .uniform_work_group_size: 1
    .uses_dynamic_stack: false
    .vgpr_count:     28
    .vgpr_spill_count: 0
    .wavefront_size: 64
  - .args:
      - .offset:         0
        .size:           4
        .value_kind:     by_value
      - .address_space:  global
        .offset:         8
        .size:           8
        .value_kind:     global_buffer
      - .offset:         16
        .size:           8
        .value_kind:     by_value
      - .offset:         24
        .size:           8
        .value_kind:     by_value
      - .address_space:  global
        .offset:         32
        .size:           8
        .value_kind:     global_buffer
      - .offset:         40
        .size:           8
        .value_kind:     by_value
      - .offset:         48
        .size:           8
        .value_kind:     by_value
      - .address_space:  global
        .offset:         56
        .size:           8
        .value_kind:     global_buffer
      - .offset:         64
        .size:           8
        .value_kind:     by_value
      - .offset:         72
        .size:           4
        .value_kind:     by_value
      - .offset:         80
        .size:           8
        .value_kind:     by_value
      - .address_space:  global
        .offset:         88
        .size:           8
        .value_kind:     global_buffer
      - .offset:         96
        .size:           8
        .value_kind:     by_value
    .group_segment_fixed_size: 64
    .kernarg_segment_align: 8
    .kernarg_segment_size: 104
    .language:       OpenCL C
    .language_version:
      - 2
      - 0
    .max_flat_workgroup_size: 256
    .name:           _ZN9rocsolver6v33100L18larfg_kernel_smallILi256E19rocblas_complex_numIdEidPKPS3_EEvT1_T3_llPT2_llS8_lS7_lPT0_l
    .private_segment_fixed_size: 0
    .sgpr_count:     30
    .sgpr_spill_count: 0
    .symbol:         _ZN9rocsolver6v33100L18larfg_kernel_smallILi256E19rocblas_complex_numIdEidPKPS3_EEvT1_T3_llPT2_llS8_lS7_lPT0_l.kd
    .uniform_work_group_size: 1
    .uses_dynamic_stack: false
    .vgpr_count:     28
    .vgpr_spill_count: 0
    .wavefront_size: 64
  - .args:
      - .offset:         0
        .size:           4
        .value_kind:     by_value
      - .address_space:  global
        .offset:         8
        .size:           8
        .value_kind:     global_buffer
      - .offset:         16
        .size:           8
        .value_kind:     by_value
      - .offset:         24
        .size:           8
        .value_kind:     by_value
      - .address_space:  global
        .offset:         32
        .size:           8
        .value_kind:     global_buffer
      - .offset:         40
        .size:           8
        .value_kind:     by_value
      - .offset:         48
        .size:           8
        .value_kind:     by_value
      - .address_space:  global
        .offset:         56
        .size:           8
        .value_kind:     global_buffer
      - .offset:         64
        .size:           8
        .value_kind:     by_value
      - .offset:         72
        .size:           4
        .value_kind:     by_value
      - .offset:         80
        .size:           8
        .value_kind:     by_value
      - .address_space:  global
        .offset:         88
        .size:           8
        .value_kind:     global_buffer
      - .offset:         96
        .size:           8
        .value_kind:     by_value
    .group_segment_fixed_size: 128
    .kernarg_segment_align: 8
    .kernarg_segment_size: 104
    .language:       OpenCL C
    .language_version:
      - 2
      - 0
    .max_flat_workgroup_size: 512
    .name:           _ZN9rocsolver6v33100L18larfg_kernel_smallILi512E19rocblas_complex_numIdEidPKPS3_EEvT1_T3_llPT2_llS8_lS7_lPT0_l
    .private_segment_fixed_size: 0
    .sgpr_count:     30
    .sgpr_spill_count: 0
    .symbol:         _ZN9rocsolver6v33100L18larfg_kernel_smallILi512E19rocblas_complex_numIdEidPKPS3_EEvT1_T3_llPT2_llS8_lS7_lPT0_l.kd
    .uniform_work_group_size: 1
    .uses_dynamic_stack: false
    .vgpr_count:     28
    .vgpr_spill_count: 0
    .wavefront_size: 64
  - .args:
      - .offset:         0
        .size:           4
        .value_kind:     by_value
      - .address_space:  global
        .offset:         8
        .size:           8
        .value_kind:     global_buffer
      - .offset:         16
        .size:           8
        .value_kind:     by_value
      - .offset:         24
        .size:           8
        .value_kind:     by_value
      - .address_space:  global
        .offset:         32
        .size:           8
        .value_kind:     global_buffer
      - .offset:         40
        .size:           8
        .value_kind:     by_value
      - .offset:         48
        .size:           8
        .value_kind:     by_value
      - .address_space:  global
        .offset:         56
        .size:           8
        .value_kind:     global_buffer
      - .offset:         64
        .size:           8
        .value_kind:     by_value
      - .offset:         72
        .size:           4
        .value_kind:     by_value
      - .offset:         80
        .size:           8
        .value_kind:     by_value
      - .address_space:  global
        .offset:         88
        .size:           8
        .value_kind:     global_buffer
      - .offset:         96
        .size:           8
        .value_kind:     by_value
    .group_segment_fixed_size: 256
    .kernarg_segment_align: 8
    .kernarg_segment_size: 104
    .language:       OpenCL C
    .language_version:
      - 2
      - 0
    .max_flat_workgroup_size: 1024
    .name:           _ZN9rocsolver6v33100L18larfg_kernel_smallILi1024E19rocblas_complex_numIdEidPKPS3_EEvT1_T3_llPT2_llS8_lS7_lPT0_l
    .private_segment_fixed_size: 0
    .sgpr_count:     30
    .sgpr_spill_count: 0
    .symbol:         _ZN9rocsolver6v33100L18larfg_kernel_smallILi1024E19rocblas_complex_numIdEidPKPS3_EEvT1_T3_llPT2_llS8_lS7_lPT0_l.kd
    .uniform_work_group_size: 1
    .uses_dynamic_stack: false
    .vgpr_count:     28
    .vgpr_spill_count: 0
    .wavefront_size: 64
  - .args:
      - .offset:         0
        .size:           8
        .value_kind:     by_value
      - .address_space:  global
        .offset:         8
        .size:           8
        .value_kind:     global_buffer
      - .offset:         16
        .size:           8
        .value_kind:     by_value
      - .offset:         24
        .size:           8
        .value_kind:     by_value
      - .address_space:  global
        .offset:         32
        .size:           8
        .value_kind:     global_buffer
      - .offset:         40
        .size:           8
        .value_kind:     by_value
      - .offset:         48
        .size:           8
        .value_kind:     by_value
      - .address_space:  global
        .offset:         56
        .size:           8
        .value_kind:     global_buffer
      - .offset:         64
        .size:           8
        .value_kind:     by_value
      - .offset:         72
        .size:           8
        .value_kind:     by_value
      - .offset:         80
        .size:           8
        .value_kind:     by_value
      - .address_space:  global
        .offset:         88
        .size:           8
        .value_kind:     global_buffer
      - .offset:         96
        .size:           8
        .value_kind:     by_value
    .group_segment_fixed_size: 16
    .kernarg_segment_align: 8
    .kernarg_segment_size: 104
    .language:       OpenCL C
    .language_version:
      - 2
      - 0
    .max_flat_workgroup_size: 64
    .name:           _ZN9rocsolver6v33100L18larfg_kernel_smallILi64E19rocblas_complex_numIdEldPS3_EEvT1_T3_llPT2_llS6_lS5_lPT0_l
    .private_segment_fixed_size: 0
    .sgpr_count:     41
    .sgpr_spill_count: 0
    .symbol:         _ZN9rocsolver6v33100L18larfg_kernel_smallILi64E19rocblas_complex_numIdEldPS3_EEvT1_T3_llPT2_llS6_lS5_lPT0_l.kd
    .uniform_work_group_size: 1
    .uses_dynamic_stack: false
    .vgpr_count:     19
    .vgpr_spill_count: 0
    .wavefront_size: 64
  - .args:
      - .offset:         0
        .size:           8
        .value_kind:     by_value
      - .address_space:  global
        .offset:         8
        .size:           8
        .value_kind:     global_buffer
      - .offset:         16
        .size:           8
        .value_kind:     by_value
      - .offset:         24
        .size:           8
        .value_kind:     by_value
      - .address_space:  global
        .offset:         32
        .size:           8
        .value_kind:     global_buffer
      - .offset:         40
        .size:           8
        .value_kind:     by_value
      - .offset:         48
        .size:           8
        .value_kind:     by_value
      - .address_space:  global
        .offset:         56
        .size:           8
        .value_kind:     global_buffer
      - .offset:         64
        .size:           8
        .value_kind:     by_value
      - .offset:         72
        .size:           8
        .value_kind:     by_value
      - .offset:         80
        .size:           8
        .value_kind:     by_value
      - .address_space:  global
        .offset:         88
        .size:           8
        .value_kind:     global_buffer
      - .offset:         96
        .size:           8
        .value_kind:     by_value
    .group_segment_fixed_size: 32
    .kernarg_segment_align: 8
    .kernarg_segment_size: 104
    .language:       OpenCL C
    .language_version:
      - 2
      - 0
    .max_flat_workgroup_size: 128
    .name:           _ZN9rocsolver6v33100L18larfg_kernel_smallILi128E19rocblas_complex_numIdEldPS3_EEvT1_T3_llPT2_llS6_lS5_lPT0_l
    .private_segment_fixed_size: 0
    .sgpr_count:     41
    .sgpr_spill_count: 0
    .symbol:         _ZN9rocsolver6v33100L18larfg_kernel_smallILi128E19rocblas_complex_numIdEldPS3_EEvT1_T3_llPT2_llS6_lS5_lPT0_l.kd
    .uniform_work_group_size: 1
    .uses_dynamic_stack: false
    .vgpr_count:     19
    .vgpr_spill_count: 0
    .wavefront_size: 64
  - .args:
      - .offset:         0
        .size:           8
        .value_kind:     by_value
      - .address_space:  global
        .offset:         8
        .size:           8
        .value_kind:     global_buffer
      - .offset:         16
        .size:           8
        .value_kind:     by_value
      - .offset:         24
        .size:           8
        .value_kind:     by_value
      - .address_space:  global
        .offset:         32
        .size:           8
        .value_kind:     global_buffer
      - .offset:         40
        .size:           8
        .value_kind:     by_value
      - .offset:         48
        .size:           8
        .value_kind:     by_value
      - .address_space:  global
        .offset:         56
        .size:           8
        .value_kind:     global_buffer
      - .offset:         64
        .size:           8
        .value_kind:     by_value
      - .offset:         72
        .size:           8
        .value_kind:     by_value
      - .offset:         80
        .size:           8
        .value_kind:     by_value
      - .address_space:  global
        .offset:         88
        .size:           8
        .value_kind:     global_buffer
      - .offset:         96
        .size:           8
        .value_kind:     by_value
    .group_segment_fixed_size: 64
    .kernarg_segment_align: 8
    .kernarg_segment_size: 104
    .language:       OpenCL C
    .language_version:
      - 2
      - 0
    .max_flat_workgroup_size: 256
    .name:           _ZN9rocsolver6v33100L18larfg_kernel_smallILi256E19rocblas_complex_numIdEldPS3_EEvT1_T3_llPT2_llS6_lS5_lPT0_l
    .private_segment_fixed_size: 0
    .sgpr_count:     41
    .sgpr_spill_count: 0
    .symbol:         _ZN9rocsolver6v33100L18larfg_kernel_smallILi256E19rocblas_complex_numIdEldPS3_EEvT1_T3_llPT2_llS6_lS5_lPT0_l.kd
    .uniform_work_group_size: 1
    .uses_dynamic_stack: false
    .vgpr_count:     19
    .vgpr_spill_count: 0
    .wavefront_size: 64
  - .args:
      - .offset:         0
        .size:           8
        .value_kind:     by_value
      - .address_space:  global
        .offset:         8
        .size:           8
        .value_kind:     global_buffer
      - .offset:         16
        .size:           8
        .value_kind:     by_value
      - .offset:         24
        .size:           8
        .value_kind:     by_value
      - .address_space:  global
        .offset:         32
        .size:           8
        .value_kind:     global_buffer
      - .offset:         40
        .size:           8
        .value_kind:     by_value
      - .offset:         48
        .size:           8
        .value_kind:     by_value
      - .address_space:  global
        .offset:         56
        .size:           8
        .value_kind:     global_buffer
      - .offset:         64
        .size:           8
        .value_kind:     by_value
      - .offset:         72
        .size:           8
        .value_kind:     by_value
      - .offset:         80
        .size:           8
        .value_kind:     by_value
      - .address_space:  global
        .offset:         88
        .size:           8
        .value_kind:     global_buffer
      - .offset:         96
        .size:           8
        .value_kind:     by_value
    .group_segment_fixed_size: 128
    .kernarg_segment_align: 8
    .kernarg_segment_size: 104
    .language:       OpenCL C
    .language_version:
      - 2
      - 0
    .max_flat_workgroup_size: 512
    .name:           _ZN9rocsolver6v33100L18larfg_kernel_smallILi512E19rocblas_complex_numIdEldPS3_EEvT1_T3_llPT2_llS6_lS5_lPT0_l
    .private_segment_fixed_size: 0
    .sgpr_count:     41
    .sgpr_spill_count: 0
    .symbol:         _ZN9rocsolver6v33100L18larfg_kernel_smallILi512E19rocblas_complex_numIdEldPS3_EEvT1_T3_llPT2_llS6_lS5_lPT0_l.kd
    .uniform_work_group_size: 1
    .uses_dynamic_stack: false
    .vgpr_count:     19
    .vgpr_spill_count: 0
    .wavefront_size: 64
  - .args:
      - .offset:         0
        .size:           8
        .value_kind:     by_value
      - .address_space:  global
        .offset:         8
        .size:           8
        .value_kind:     global_buffer
      - .offset:         16
        .size:           8
        .value_kind:     by_value
      - .offset:         24
        .size:           8
        .value_kind:     by_value
      - .address_space:  global
        .offset:         32
        .size:           8
        .value_kind:     global_buffer
      - .offset:         40
        .size:           8
        .value_kind:     by_value
      - .offset:         48
        .size:           8
        .value_kind:     by_value
      - .address_space:  global
        .offset:         56
        .size:           8
        .value_kind:     global_buffer
      - .offset:         64
        .size:           8
        .value_kind:     by_value
      - .offset:         72
        .size:           8
        .value_kind:     by_value
      - .offset:         80
        .size:           8
        .value_kind:     by_value
      - .address_space:  global
        .offset:         88
        .size:           8
        .value_kind:     global_buffer
      - .offset:         96
        .size:           8
        .value_kind:     by_value
    .group_segment_fixed_size: 256
    .kernarg_segment_align: 8
    .kernarg_segment_size: 104
    .language:       OpenCL C
    .language_version:
      - 2
      - 0
    .max_flat_workgroup_size: 1024
    .name:           _ZN9rocsolver6v33100L18larfg_kernel_smallILi1024E19rocblas_complex_numIdEldPS3_EEvT1_T3_llPT2_llS6_lS5_lPT0_l
    .private_segment_fixed_size: 0
    .sgpr_count:     41
    .sgpr_spill_count: 0
    .symbol:         _ZN9rocsolver6v33100L18larfg_kernel_smallILi1024E19rocblas_complex_numIdEldPS3_EEvT1_T3_llPT2_llS6_lS5_lPT0_l.kd
    .uniform_work_group_size: 1
    .uses_dynamic_stack: false
    .vgpr_count:     19
    .vgpr_spill_count: 0
    .wavefront_size: 64
  - .args:
      - .offset:         0
        .size:           8
        .value_kind:     by_value
      - .address_space:  global
        .offset:         8
        .size:           8
        .value_kind:     global_buffer
      - .offset:         16
        .size:           8
        .value_kind:     by_value
      - .offset:         24
        .size:           8
        .value_kind:     by_value
      - .address_space:  global
        .offset:         32
        .size:           8
        .value_kind:     global_buffer
      - .offset:         40
        .size:           8
        .value_kind:     by_value
      - .offset:         48
        .size:           8
        .value_kind:     by_value
      - .address_space:  global
        .offset:         56
        .size:           8
        .value_kind:     global_buffer
      - .offset:         64
        .size:           8
        .value_kind:     by_value
      - .offset:         72
        .size:           8
        .value_kind:     by_value
      - .offset:         80
        .size:           8
        .value_kind:     by_value
      - .address_space:  global
        .offset:         88
        .size:           8
        .value_kind:     global_buffer
      - .offset:         96
        .size:           8
        .value_kind:     by_value
    .group_segment_fixed_size: 16
    .kernarg_segment_align: 8
    .kernarg_segment_size: 104
    .language:       OpenCL C
    .language_version:
      - 2
      - 0
    .max_flat_workgroup_size: 64
    .name:           _ZN9rocsolver6v33100L18larfg_kernel_smallILi64E19rocblas_complex_numIdEldPKPS3_EEvT1_T3_llPT2_llS8_lS7_lPT0_l
    .private_segment_fixed_size: 0
    .sgpr_count:     34
    .sgpr_spill_count: 0
    .symbol:         _ZN9rocsolver6v33100L18larfg_kernel_smallILi64E19rocblas_complex_numIdEldPKPS3_EEvT1_T3_llPT2_llS8_lS7_lPT0_l.kd
    .uniform_work_group_size: 1
    .uses_dynamic_stack: false
    .vgpr_count:     27
    .vgpr_spill_count: 0
    .wavefront_size: 64
  - .args:
      - .offset:         0
        .size:           8
        .value_kind:     by_value
      - .address_space:  global
        .offset:         8
        .size:           8
        .value_kind:     global_buffer
      - .offset:         16
        .size:           8
        .value_kind:     by_value
      - .offset:         24
        .size:           8
        .value_kind:     by_value
      - .address_space:  global
        .offset:         32
        .size:           8
        .value_kind:     global_buffer
      - .offset:         40
        .size:           8
        .value_kind:     by_value
      - .offset:         48
        .size:           8
        .value_kind:     by_value
      - .address_space:  global
        .offset:         56
        .size:           8
        .value_kind:     global_buffer
      - .offset:         64
        .size:           8
        .value_kind:     by_value
      - .offset:         72
        .size:           8
        .value_kind:     by_value
      - .offset:         80
        .size:           8
        .value_kind:     by_value
      - .address_space:  global
        .offset:         88
        .size:           8
        .value_kind:     global_buffer
      - .offset:         96
        .size:           8
        .value_kind:     by_value
    .group_segment_fixed_size: 32
    .kernarg_segment_align: 8
    .kernarg_segment_size: 104
    .language:       OpenCL C
    .language_version:
      - 2
      - 0
    .max_flat_workgroup_size: 128
    .name:           _ZN9rocsolver6v33100L18larfg_kernel_smallILi128E19rocblas_complex_numIdEldPKPS3_EEvT1_T3_llPT2_llS8_lS7_lPT0_l
    .private_segment_fixed_size: 0
    .sgpr_count:     34
    .sgpr_spill_count: 0
    .symbol:         _ZN9rocsolver6v33100L18larfg_kernel_smallILi128E19rocblas_complex_numIdEldPKPS3_EEvT1_T3_llPT2_llS8_lS7_lPT0_l.kd
    .uniform_work_group_size: 1
    .uses_dynamic_stack: false
    .vgpr_count:     27
    .vgpr_spill_count: 0
    .wavefront_size: 64
  - .args:
      - .offset:         0
        .size:           8
        .value_kind:     by_value
      - .address_space:  global
        .offset:         8
        .size:           8
        .value_kind:     global_buffer
      - .offset:         16
        .size:           8
        .value_kind:     by_value
      - .offset:         24
        .size:           8
        .value_kind:     by_value
      - .address_space:  global
        .offset:         32
        .size:           8
        .value_kind:     global_buffer
      - .offset:         40
        .size:           8
        .value_kind:     by_value
      - .offset:         48
        .size:           8
        .value_kind:     by_value
      - .address_space:  global
        .offset:         56
        .size:           8
        .value_kind:     global_buffer
      - .offset:         64
        .size:           8
        .value_kind:     by_value
      - .offset:         72
        .size:           8
        .value_kind:     by_value
      - .offset:         80
        .size:           8
        .value_kind:     by_value
      - .address_space:  global
        .offset:         88
        .size:           8
        .value_kind:     global_buffer
      - .offset:         96
        .size:           8
        .value_kind:     by_value
    .group_segment_fixed_size: 64
    .kernarg_segment_align: 8
    .kernarg_segment_size: 104
    .language:       OpenCL C
    .language_version:
      - 2
      - 0
    .max_flat_workgroup_size: 256
    .name:           _ZN9rocsolver6v33100L18larfg_kernel_smallILi256E19rocblas_complex_numIdEldPKPS3_EEvT1_T3_llPT2_llS8_lS7_lPT0_l
    .private_segment_fixed_size: 0
    .sgpr_count:     34
    .sgpr_spill_count: 0
    .symbol:         _ZN9rocsolver6v33100L18larfg_kernel_smallILi256E19rocblas_complex_numIdEldPKPS3_EEvT1_T3_llPT2_llS8_lS7_lPT0_l.kd
    .uniform_work_group_size: 1
    .uses_dynamic_stack: false
    .vgpr_count:     27
    .vgpr_spill_count: 0
    .wavefront_size: 64
  - .args:
      - .offset:         0
        .size:           8
        .value_kind:     by_value
      - .address_space:  global
        .offset:         8
        .size:           8
        .value_kind:     global_buffer
      - .offset:         16
        .size:           8
        .value_kind:     by_value
      - .offset:         24
        .size:           8
        .value_kind:     by_value
      - .address_space:  global
        .offset:         32
        .size:           8
        .value_kind:     global_buffer
      - .offset:         40
        .size:           8
        .value_kind:     by_value
      - .offset:         48
        .size:           8
        .value_kind:     by_value
      - .address_space:  global
        .offset:         56
        .size:           8
        .value_kind:     global_buffer
      - .offset:         64
        .size:           8
        .value_kind:     by_value
      - .offset:         72
        .size:           8
        .value_kind:     by_value
      - .offset:         80
        .size:           8
        .value_kind:     by_value
      - .address_space:  global
        .offset:         88
        .size:           8
        .value_kind:     global_buffer
      - .offset:         96
        .size:           8
        .value_kind:     by_value
    .group_segment_fixed_size: 128
    .kernarg_segment_align: 8
    .kernarg_segment_size: 104
    .language:       OpenCL C
    .language_version:
      - 2
      - 0
    .max_flat_workgroup_size: 512
    .name:           _ZN9rocsolver6v33100L18larfg_kernel_smallILi512E19rocblas_complex_numIdEldPKPS3_EEvT1_T3_llPT2_llS8_lS7_lPT0_l
    .private_segment_fixed_size: 0
    .sgpr_count:     34
    .sgpr_spill_count: 0
    .symbol:         _ZN9rocsolver6v33100L18larfg_kernel_smallILi512E19rocblas_complex_numIdEldPKPS3_EEvT1_T3_llPT2_llS8_lS7_lPT0_l.kd
    .uniform_work_group_size: 1
    .uses_dynamic_stack: false
    .vgpr_count:     27
    .vgpr_spill_count: 0
    .wavefront_size: 64
  - .args:
      - .offset:         0
        .size:           8
        .value_kind:     by_value
      - .address_space:  global
        .offset:         8
        .size:           8
        .value_kind:     global_buffer
      - .offset:         16
        .size:           8
        .value_kind:     by_value
      - .offset:         24
        .size:           8
        .value_kind:     by_value
      - .address_space:  global
        .offset:         32
        .size:           8
        .value_kind:     global_buffer
      - .offset:         40
        .size:           8
        .value_kind:     by_value
      - .offset:         48
        .size:           8
        .value_kind:     by_value
      - .address_space:  global
        .offset:         56
        .size:           8
        .value_kind:     global_buffer
      - .offset:         64
        .size:           8
        .value_kind:     by_value
      - .offset:         72
        .size:           8
        .value_kind:     by_value
      - .offset:         80
        .size:           8
        .value_kind:     by_value
      - .address_space:  global
        .offset:         88
        .size:           8
        .value_kind:     global_buffer
      - .offset:         96
        .size:           8
        .value_kind:     by_value
    .group_segment_fixed_size: 256
    .kernarg_segment_align: 8
    .kernarg_segment_size: 104
    .language:       OpenCL C
    .language_version:
      - 2
      - 0
    .max_flat_workgroup_size: 1024
    .name:           _ZN9rocsolver6v33100L18larfg_kernel_smallILi1024E19rocblas_complex_numIdEldPKPS3_EEvT1_T3_llPT2_llS8_lS7_lPT0_l
    .private_segment_fixed_size: 0
    .sgpr_count:     34
    .sgpr_spill_count: 0
    .symbol:         _ZN9rocsolver6v33100L18larfg_kernel_smallILi1024E19rocblas_complex_numIdEldPKPS3_EEvT1_T3_llPT2_llS8_lS7_lPT0_l.kd
    .uniform_work_group_size: 1
    .uses_dynamic_stack: false
    .vgpr_count:     27
    .vgpr_spill_count: 0
    .wavefront_size: 64
amdhsa.target:   amdgcn-amd-amdhsa--gfx906
amdhsa.version:
  - 1
  - 2
...

	.end_amdgpu_metadata
